;; amdgpu-corpus repo=ROCm/rocFFT kind=compiled arch=gfx1030 opt=O3
	.text
	.amdgcn_target "amdgcn-amd-amdhsa--gfx1030"
	.amdhsa_code_object_version 6
	.protected	fft_rtc_fwd_len975_factors_13_5_3_5_wgs_117_tpt_39_halfLds_dp_ip_CI_sbrr_dirReg ; -- Begin function fft_rtc_fwd_len975_factors_13_5_3_5_wgs_117_tpt_39_halfLds_dp_ip_CI_sbrr_dirReg
	.globl	fft_rtc_fwd_len975_factors_13_5_3_5_wgs_117_tpt_39_halfLds_dp_ip_CI_sbrr_dirReg
	.p2align	8
	.type	fft_rtc_fwd_len975_factors_13_5_3_5_wgs_117_tpt_39_halfLds_dp_ip_CI_sbrr_dirReg,@function
fft_rtc_fwd_len975_factors_13_5_3_5_wgs_117_tpt_39_halfLds_dp_ip_CI_sbrr_dirReg: ; @fft_rtc_fwd_len975_factors_13_5_3_5_wgs_117_tpt_39_halfLds_dp_ip_CI_sbrr_dirReg
; %bb.0:
	s_clause 0x1
	s_load_dwordx2 s[14:15], s[4:5], 0x18
	s_load_dwordx4 s[8:11], s[4:5], 0x0
	v_mul_u32_u24_e32 v1, 0x691, v0
	s_load_dwordx2 s[12:13], s[4:5], 0x50
	s_waitcnt lgkmcnt(0)
	s_load_dwordx2 s[2:3], s[14:15], 0x0
	v_lshrrev_b32_e32 v2, 16, v1
	v_mov_b32_e32 v1, 0
	v_cmp_lt_u64_e64 s0, s[10:11], 2
	v_mad_u64_u32 v[106:107], null, s6, 3, v[2:3]
	v_mov_b32_e32 v107, v1
	v_mov_b32_e32 v3, 0
	;; [unrolled: 1-line block ×3, first 2 shown]
	s_and_b32 vcc_lo, exec_lo, s0
	v_mov_b32_e32 v7, v106
	v_mov_b32_e32 v8, v107
	s_cbranch_vccnz .LBB0_8
; %bb.1:
	s_load_dwordx2 s[0:1], s[4:5], 0x10
	v_mov_b32_e32 v3, 0
	v_mov_b32_e32 v5, v106
	s_add_u32 s6, s14, 8
	v_mov_b32_e32 v4, 0
	v_mov_b32_e32 v6, v107
	s_addc_u32 s7, s15, 0
	s_mov_b64 s[18:19], 1
	s_waitcnt lgkmcnt(0)
	s_add_u32 s16, s0, 8
	s_addc_u32 s17, s1, 0
.LBB0_2:                                ; =>This Inner Loop Header: Depth=1
	s_load_dwordx2 s[20:21], s[16:17], 0x0
                                        ; implicit-def: $vgpr7_vgpr8
	s_mov_b32 s0, exec_lo
	s_waitcnt lgkmcnt(0)
	v_or_b32_e32 v2, s21, v6
	v_cmpx_ne_u64_e32 0, v[1:2]
	s_xor_b32 s1, exec_lo, s0
	s_cbranch_execz .LBB0_4
; %bb.3:                                ;   in Loop: Header=BB0_2 Depth=1
	v_cvt_f32_u32_e32 v2, s20
	v_cvt_f32_u32_e32 v7, s21
	s_sub_u32 s0, 0, s20
	s_subb_u32 s22, 0, s21
	v_fmac_f32_e32 v2, 0x4f800000, v7
	v_rcp_f32_e32 v2, v2
	v_mul_f32_e32 v2, 0x5f7ffffc, v2
	v_mul_f32_e32 v7, 0x2f800000, v2
	v_trunc_f32_e32 v7, v7
	v_fmac_f32_e32 v2, 0xcf800000, v7
	v_cvt_u32_f32_e32 v7, v7
	v_cvt_u32_f32_e32 v2, v2
	v_mul_lo_u32 v8, s0, v7
	v_mul_hi_u32 v9, s0, v2
	v_mul_lo_u32 v10, s22, v2
	v_add_nc_u32_e32 v8, v9, v8
	v_mul_lo_u32 v9, s0, v2
	v_add_nc_u32_e32 v8, v8, v10
	v_mul_hi_u32 v10, v2, v9
	v_mul_lo_u32 v11, v2, v8
	v_mul_hi_u32 v12, v2, v8
	v_mul_hi_u32 v13, v7, v9
	v_mul_lo_u32 v9, v7, v9
	v_mul_hi_u32 v14, v7, v8
	v_mul_lo_u32 v8, v7, v8
	v_add_co_u32 v10, vcc_lo, v10, v11
	v_add_co_ci_u32_e32 v11, vcc_lo, 0, v12, vcc_lo
	v_add_co_u32 v9, vcc_lo, v10, v9
	v_add_co_ci_u32_e32 v9, vcc_lo, v11, v13, vcc_lo
	v_add_co_ci_u32_e32 v10, vcc_lo, 0, v14, vcc_lo
	v_add_co_u32 v8, vcc_lo, v9, v8
	v_add_co_ci_u32_e32 v9, vcc_lo, 0, v10, vcc_lo
	v_add_co_u32 v2, vcc_lo, v2, v8
	v_add_co_ci_u32_e32 v7, vcc_lo, v7, v9, vcc_lo
	v_mul_hi_u32 v8, s0, v2
	v_mul_lo_u32 v10, s22, v2
	v_mul_lo_u32 v9, s0, v7
	v_add_nc_u32_e32 v8, v8, v9
	v_mul_lo_u32 v9, s0, v2
	v_add_nc_u32_e32 v8, v8, v10
	v_mul_hi_u32 v10, v2, v9
	v_mul_lo_u32 v11, v2, v8
	v_mul_hi_u32 v12, v2, v8
	v_mul_hi_u32 v13, v7, v9
	v_mul_lo_u32 v9, v7, v9
	v_mul_hi_u32 v14, v7, v8
	v_mul_lo_u32 v8, v7, v8
	v_add_co_u32 v10, vcc_lo, v10, v11
	v_add_co_ci_u32_e32 v11, vcc_lo, 0, v12, vcc_lo
	v_add_co_u32 v9, vcc_lo, v10, v9
	v_add_co_ci_u32_e32 v9, vcc_lo, v11, v13, vcc_lo
	v_add_co_ci_u32_e32 v10, vcc_lo, 0, v14, vcc_lo
	v_add_co_u32 v8, vcc_lo, v9, v8
	v_add_co_ci_u32_e32 v9, vcc_lo, 0, v10, vcc_lo
	v_add_co_u32 v2, vcc_lo, v2, v8
	v_add_co_ci_u32_e32 v11, vcc_lo, v7, v9, vcc_lo
	v_mul_hi_u32 v13, v5, v2
	v_mad_u64_u32 v[9:10], null, v6, v2, 0
	v_mad_u64_u32 v[7:8], null, v5, v11, 0
	v_mad_u64_u32 v[11:12], null, v6, v11, 0
	v_add_co_u32 v2, vcc_lo, v13, v7
	v_add_co_ci_u32_e32 v7, vcc_lo, 0, v8, vcc_lo
	v_add_co_u32 v2, vcc_lo, v2, v9
	v_add_co_ci_u32_e32 v2, vcc_lo, v7, v10, vcc_lo
	v_add_co_ci_u32_e32 v7, vcc_lo, 0, v12, vcc_lo
	v_add_co_u32 v2, vcc_lo, v2, v11
	v_add_co_ci_u32_e32 v9, vcc_lo, 0, v7, vcc_lo
	v_mul_lo_u32 v10, s21, v2
	v_mad_u64_u32 v[7:8], null, s20, v2, 0
	v_mul_lo_u32 v11, s20, v9
	v_sub_co_u32 v7, vcc_lo, v5, v7
	v_add3_u32 v8, v8, v11, v10
	v_sub_nc_u32_e32 v10, v6, v8
	v_subrev_co_ci_u32_e64 v10, s0, s21, v10, vcc_lo
	v_add_co_u32 v11, s0, v2, 2
	v_add_co_ci_u32_e64 v12, s0, 0, v9, s0
	v_sub_co_u32 v13, s0, v7, s20
	v_sub_co_ci_u32_e32 v8, vcc_lo, v6, v8, vcc_lo
	v_subrev_co_ci_u32_e64 v10, s0, 0, v10, s0
	v_cmp_le_u32_e32 vcc_lo, s20, v13
	v_cmp_eq_u32_e64 s0, s21, v8
	v_cndmask_b32_e64 v13, 0, -1, vcc_lo
	v_cmp_le_u32_e32 vcc_lo, s21, v10
	v_cndmask_b32_e64 v14, 0, -1, vcc_lo
	v_cmp_le_u32_e32 vcc_lo, s20, v7
	;; [unrolled: 2-line block ×3, first 2 shown]
	v_cndmask_b32_e64 v15, 0, -1, vcc_lo
	v_cmp_eq_u32_e32 vcc_lo, s21, v10
	v_cndmask_b32_e64 v7, v15, v7, s0
	v_cndmask_b32_e32 v10, v14, v13, vcc_lo
	v_add_co_u32 v13, vcc_lo, v2, 1
	v_add_co_ci_u32_e32 v14, vcc_lo, 0, v9, vcc_lo
	v_cmp_ne_u32_e32 vcc_lo, 0, v10
	v_cndmask_b32_e32 v8, v14, v12, vcc_lo
	v_cndmask_b32_e32 v10, v13, v11, vcc_lo
	v_cmp_ne_u32_e32 vcc_lo, 0, v7
	v_cndmask_b32_e32 v8, v9, v8, vcc_lo
	v_cndmask_b32_e32 v7, v2, v10, vcc_lo
.LBB0_4:                                ;   in Loop: Header=BB0_2 Depth=1
	s_andn2_saveexec_b32 s0, s1
	s_cbranch_execz .LBB0_6
; %bb.5:                                ;   in Loop: Header=BB0_2 Depth=1
	v_cvt_f32_u32_e32 v2, s20
	s_sub_i32 s1, 0, s20
	v_rcp_iflag_f32_e32 v2, v2
	v_mul_f32_e32 v2, 0x4f7ffffe, v2
	v_cvt_u32_f32_e32 v2, v2
	v_mul_lo_u32 v7, s1, v2
	v_mul_hi_u32 v7, v2, v7
	v_add_nc_u32_e32 v2, v2, v7
	v_mul_hi_u32 v2, v5, v2
	v_mul_lo_u32 v7, v2, s20
	v_add_nc_u32_e32 v8, 1, v2
	v_sub_nc_u32_e32 v7, v5, v7
	v_subrev_nc_u32_e32 v9, s20, v7
	v_cmp_le_u32_e32 vcc_lo, s20, v7
	v_cndmask_b32_e32 v7, v7, v9, vcc_lo
	v_cndmask_b32_e32 v2, v2, v8, vcc_lo
	v_cmp_le_u32_e32 vcc_lo, s20, v7
	v_add_nc_u32_e32 v8, 1, v2
	v_cndmask_b32_e32 v7, v2, v8, vcc_lo
	v_mov_b32_e32 v8, v1
.LBB0_6:                                ;   in Loop: Header=BB0_2 Depth=1
	s_or_b32 exec_lo, exec_lo, s0
	s_load_dwordx2 s[0:1], s[6:7], 0x0
	v_mul_lo_u32 v2, v8, s20
	v_mul_lo_u32 v11, v7, s21
	v_mad_u64_u32 v[9:10], null, v7, s20, 0
	s_add_u32 s18, s18, 1
	s_addc_u32 s19, s19, 0
	s_add_u32 s6, s6, 8
	s_addc_u32 s7, s7, 0
	s_add_u32 s16, s16, 8
	s_addc_u32 s17, s17, 0
	v_add3_u32 v2, v10, v11, v2
	v_sub_co_u32 v5, vcc_lo, v5, v9
	v_sub_co_ci_u32_e32 v2, vcc_lo, v6, v2, vcc_lo
	s_waitcnt lgkmcnt(0)
	v_mul_lo_u32 v6, s1, v5
	v_mul_lo_u32 v2, s0, v2
	v_mad_u64_u32 v[3:4], null, s0, v5, v[3:4]
	v_cmp_ge_u64_e64 s0, s[18:19], s[10:11]
	s_and_b32 vcc_lo, exec_lo, s0
	v_add3_u32 v4, v6, v4, v2
	s_cbranch_vccnz .LBB0_8
; %bb.7:                                ;   in Loop: Header=BB0_2 Depth=1
	v_mov_b32_e32 v5, v7
	v_mov_b32_e32 v6, v8
	s_branch .LBB0_2
.LBB0_8:
	s_lshl_b64 s[0:1], s[10:11], 3
                                        ; implicit-def: $vgpr10_vgpr11
                                        ; implicit-def: $vgpr18_vgpr19
                                        ; implicit-def: $vgpr22_vgpr23
                                        ; implicit-def: $vgpr30_vgpr31
                                        ; implicit-def: $vgpr26_vgpr27
                                        ; implicit-def: $vgpr34_vgpr35
                                        ; implicit-def: $vgpr14_vgpr15
                                        ; implicit-def: $vgpr38_vgpr39
                                        ; implicit-def: $vgpr54_vgpr55
                                        ; implicit-def: $vgpr94_vgpr95
                                        ; implicit-def: $vgpr62_vgpr63
                                        ; implicit-def: $vgpr46_vgpr47
                                        ; implicit-def: $vgpr50_vgpr51
                                        ; implicit-def: $vgpr58_vgpr59
                                        ; implicit-def: $vgpr70_vgpr71
                                        ; implicit-def: $vgpr86_vgpr87
                                        ; implicit-def: $vgpr82_vgpr83
                                        ; implicit-def: $vgpr98_vgpr99
                                        ; implicit-def: $vgpr66_vgpr67
                                        ; implicit-def: $vgpr78_vgpr79
                                        ; implicit-def: $vgpr74_vgpr75
                                        ; implicit-def: $vgpr90_vgpr91
                                        ; implicit-def: $vgpr102_vgpr103
                                        ; implicit-def: $vgpr42_vgpr43
	s_add_u32 s0, s14, s0
	s_addc_u32 s1, s15, s1
	s_load_dwordx2 s[0:1], s[0:1], 0x0
	s_load_dwordx2 s[4:5], s[4:5], 0x20
	s_waitcnt lgkmcnt(0)
	v_mul_lo_u32 v5, s0, v8
	v_mul_lo_u32 v6, s1, v7
	v_mad_u64_u32 v[1:2], null, s0, v7, v[3:4]
	v_mul_hi_u32 v3, 0x6906907, v0
	v_cmp_gt_u64_e32 vcc_lo, s[4:5], v[7:8]
	v_add3_u32 v2, v6, v2, v5
                                        ; implicit-def: $vgpr6_vgpr7
	v_mul_u32_u24_e32 v3, 39, v3
	v_lshlrev_b64 v[104:105], 4, v[1:2]
	v_sub_nc_u32_e32 v152, v0, v3
                                        ; implicit-def: $vgpr2_vgpr3
	s_and_saveexec_b32 s1, vcc_lo
	s_cbranch_execz .LBB0_12
; %bb.9:
	v_add_nc_u32_e32 v6, 0x4b, v152
	v_mad_u64_u32 v[0:1], null, s2, v152, 0
	v_add_nc_u32_e32 v12, 0x96, v152
	v_add_nc_u32_e32 v13, 0xe1, v152
	v_mad_u64_u32 v[2:3], null, s2, v6, 0
	v_add_nc_u32_e32 v14, 0x12c, v152
	v_mad_u64_u32 v[8:9], null, s2, v12, 0
	v_mad_u64_u32 v[10:11], null, s2, v13, 0
	v_add_nc_u32_e32 v16, 0x177, v152
	v_mad_u64_u32 v[4:5], null, s3, v152, v[1:2]
	v_mov_b32_e32 v1, v3
	v_add_nc_u32_e32 v17, 0x1c2, v152
	v_add_nc_u32_e32 v18, 0x20d, v152
	;; [unrolled: 1-line block ×4, first 2 shown]
	v_mad_u64_u32 v[5:6], null, s3, v6, v[1:2]
	v_mov_b32_e32 v1, v4
	v_mov_b32_e32 v4, v9
	v_add_co_u32 v6, s0, s12, v104
	v_add_co_ci_u32_e64 v7, s0, s13, v105, s0
	v_mov_b32_e32 v3, v5
	v_mov_b32_e32 v5, v11
	v_lshlrev_b64 v[0:1], 4, v[0:1]
	s_mov_b32 s4, exec_lo
                                        ; implicit-def: $vgpr60_vgpr61
                                        ; implicit-def: $vgpr92_vgpr93
                                        ; implicit-def: $vgpr52_vgpr53
                                        ; implicit-def: $vgpr36_vgpr37
                                        ; implicit-def: $vgpr32_vgpr33
                                        ; implicit-def: $vgpr24_vgpr25
                                        ; implicit-def: $vgpr28_vgpr29
	v_lshlrev_b64 v[2:3], 4, v[2:3]
	v_mad_u64_u32 v[11:12], null, s3, v12, v[4:5]
	v_add_co_u32 v0, s0, v6, v0
	v_mad_u64_u32 v[4:5], null, s3, v13, v[5:6]
	v_add_co_ci_u32_e64 v1, s0, v7, v1, s0
	v_add_co_u32 v2, s0, v6, v2
	v_mad_u64_u32 v[12:13], null, s2, v14, 0
	v_add_co_ci_u32_e64 v3, s0, v7, v3, s0
	v_mov_b32_e32 v9, v11
	s_clause 0x1
	global_load_dwordx4 v[40:43], v[0:1], off
	global_load_dwordx4 v[100:103], v[2:3], off
	v_mov_b32_e32 v11, v4
	v_mad_u64_u32 v[3:4], null, s2, v16, 0
	v_lshlrev_b64 v[0:1], 4, v[8:9]
	v_mov_b32_e32 v2, v13
	v_lshlrev_b64 v[8:9], 4, v[10:11]
	v_add_co_u32 v0, s0, v6, v0
	v_mad_u64_u32 v[10:11], null, s3, v14, v[2:3]
	v_mov_b32_e32 v2, v4
	v_mad_u64_u32 v[14:15], null, s2, v17, 0
	v_add_co_ci_u32_e64 v1, s0, v7, v1, s0
	v_add_co_u32 v4, s0, v6, v8
	v_add_co_ci_u32_e64 v5, s0, v7, v9, s0
	v_mad_u64_u32 v[8:9], null, s3, v16, v[2:3]
	v_mov_b32_e32 v13, v10
	v_mov_b32_e32 v2, v15
	v_mad_u64_u32 v[9:10], null, s2, v18, 0
	s_clause 0x1
	global_load_dwordx4 v[88:91], v[0:1], off
	global_load_dwordx4 v[72:75], v[4:5], off
	v_lshlrev_b64 v[0:1], 4, v[12:13]
	v_mad_u64_u32 v[11:12], null, s3, v17, v[2:3]
	v_mov_b32_e32 v4, v8
	v_add_nc_u32_e32 v8, 0x258, v152
	v_mov_b32_e32 v2, v10
	v_add_co_u32 v0, s0, v6, v0
	v_lshlrev_b64 v[3:4], 4, v[3:4]
	v_mov_b32_e32 v15, v11
	v_add_co_ci_u32_e64 v1, s0, v7, v1, s0
	v_add_nc_u32_e32 v17, 0x2a3, v152
	v_mad_u64_u32 v[10:11], null, s3, v18, v[2:3]
	v_add_co_u32 v2, s0, v6, v3
	v_mad_u64_u32 v[11:12], null, s2, v8, 0
	v_add_co_ci_u32_e64 v3, s0, v7, v4, s0
	v_lshlrev_b64 v[4:5], 4, v[14:15]
	s_clause 0x1
	global_load_dwordx4 v[76:79], v[0:1], off
	global_load_dwordx4 v[64:67], v[2:3], off
	v_mad_u64_u32 v[13:14], null, s2, v19, 0
	v_mov_b32_e32 v2, v12
	v_add_co_u32 v0, s0, v6, v4
	v_lshlrev_b64 v[3:4], 4, v[9:10]
	v_add_co_ci_u32_e64 v1, s0, v7, v5, s0
	v_mov_b32_e32 v5, v14
	v_mad_u64_u32 v[15:16], null, s2, v20, 0
	v_mad_u64_u32 v[8:9], null, s3, v8, v[2:3]
	;; [unrolled: 1-line block ×3, first 2 shown]
	v_add_co_u32 v2, s0, v6, v3
	v_add_co_ci_u32_e64 v3, s0, v7, v4, s0
	v_mov_b32_e32 v12, v8
	v_add_nc_u32_e32 v8, 0x384, v152
	v_mov_b32_e32 v4, v10
	s_clause 0x1
	global_load_dwordx4 v[96:99], v[0:1], off
	global_load_dwordx4 v[80:83], v[2:3], off
	v_mov_b32_e32 v0, v16
	v_lshlrev_b64 v[1:2], 4, v[11:12]
	v_mad_u64_u32 v[17:18], null, s3, v17, v[4:5]
	v_mad_u64_u32 v[4:5], null, s3, v19, v[5:6]
	;; [unrolled: 1-line block ×3, first 2 shown]
	v_mov_b32_e32 v10, v17
	v_mov_b32_e32 v14, v4
	v_mad_u64_u32 v[3:4], null, s3, v20, v[0:1]
	v_mov_b32_e32 v0, v19
	v_add_co_u32 v1, s0, v6, v1
	v_lshlrev_b64 v[4:5], 4, v[9:10]
	v_add_co_ci_u32_e64 v2, s0, v7, v2, s0
	v_mad_u64_u32 v[8:9], null, s3, v8, v[0:1]
	v_mov_b32_e32 v16, v3
	v_lshlrev_b64 v[9:10], 4, v[13:14]
	v_add_co_u32 v3, s0, v6, v4
	v_add_co_ci_u32_e64 v4, s0, v7, v5, s0
	v_mov_b32_e32 v19, v8
	v_lshlrev_b64 v[11:12], 4, v[15:16]
	v_add_co_u32 v8, s0, v6, v9
	v_add_co_ci_u32_e64 v9, s0, v7, v10, s0
	v_lshlrev_b64 v[13:14], 4, v[18:19]
	v_add_co_u32 v10, s0, v6, v11
	v_add_co_ci_u32_e64 v11, s0, v7, v12, s0
                                        ; implicit-def: $vgpr20_vgpr21
                                        ; implicit-def: $vgpr16_vgpr17
	v_add_co_u32 v12, s0, v6, v13
	v_add_co_ci_u32_e64 v13, s0, v7, v14, s0
	s_clause 0x4
	global_load_dwordx4 v[84:87], v[1:2], off
	global_load_dwordx4 v[68:71], v[3:4], off
	;; [unrolled: 1-line block ×5, first 2 shown]
                                        ; implicit-def: $vgpr0_vgpr1
                                        ; implicit-def: $vgpr12_vgpr13
                                        ; implicit-def: $vgpr8_vgpr9
                                        ; implicit-def: $vgpr4_vgpr5
	v_cmpx_gt_u32_e32 36, v152
	s_cbranch_execz .LBB0_11
; %bb.10:
	v_add_nc_u32_e32 v4, 39, v152
	v_add_nc_u32_e32 v12, 0x72, v152
	;; [unrolled: 1-line block ×5, first 2 shown]
	v_mad_u64_u32 v[0:1], null, s2, v4, 0
	v_mad_u64_u32 v[2:3], null, s2, v12, 0
	;; [unrolled: 1-line block ×4, first 2 shown]
	v_add_nc_u32_e32 v17, 0x19e, v152
	v_add_nc_u32_e32 v19, 0x1e9, v152
	v_mad_u64_u32 v[4:5], null, s3, v4, v[1:2]
	v_add_nc_u32_e32 v20, 0x234, v152
	v_add_nc_u32_e32 v23, 0x27f, v152
	;; [unrolled: 1-line block ×5, first 2 shown]
	v_mad_u64_u32 v[12:13], null, s3, v12, v[3:4]
	v_mov_b32_e32 v1, v4
	v_mad_u64_u32 v[4:5], null, s2, v16, 0
	v_mad_u64_u32 v[21:22], null, s2, v23, 0
	v_lshlrev_b64 v[0:1], 4, v[0:1]
	v_mov_b32_e32 v3, v12
	v_mad_u64_u32 v[12:13], null, s3, v14, v[9:10]
	v_mad_u64_u32 v[28:29], null, s2, v107, 0
	v_lshlrev_b64 v[2:3], 4, v[2:3]
	v_add_co_u32 v0, s0, v6, v0
	v_add_co_ci_u32_e64 v1, s0, v7, v1, s0
	v_mad_u64_u32 v[13:14], null, s3, v15, v[11:12]
	v_add_co_u32 v14, s0, v6, v2
	v_mov_b32_e32 v9, v12
	v_add_co_ci_u32_e64 v15, s0, v7, v3, s0
	s_clause 0x1
	global_load_dwordx4 v[0:3], v[0:1], off
	global_load_dwordx4 v[60:63], v[14:15], off
	v_mov_b32_e32 v11, v13
	v_lshlrev_b64 v[8:9], 4, v[8:9]
	v_mad_u64_u32 v[12:13], null, s2, v17, 0
	v_mad_u64_u32 v[14:15], null, s3, v16, v[5:6]
	;; [unrolled: 1-line block ×3, first 2 shown]
	v_lshlrev_b64 v[10:11], 4, v[10:11]
	v_add_co_u32 v8, s0, v6, v8
	v_add_co_ci_u32_e64 v9, s0, v7, v9, s0
	v_mov_b32_e32 v5, v14
	v_add_co_u32 v10, s0, v6, v10
	v_mad_u64_u32 v[13:14], null, s3, v17, v[13:14]
	v_mad_u64_u32 v[17:18], null, s2, v20, 0
	v_mov_b32_e32 v14, v16
	v_add_co_ci_u32_e64 v11, s0, v7, v11, s0
	s_clause 0x1
	global_load_dwordx4 v[92:95], v[8:9], off
	global_load_dwordx4 v[52:55], v[10:11], off
	v_lshlrev_b64 v[4:5], 4, v[4:5]
	v_mad_u64_u32 v[8:9], null, s3, v19, v[14:15]
	v_lshlrev_b64 v[10:11], 4, v[12:13]
	v_mov_b32_e32 v9, v18
	v_add_co_u32 v4, s0, v6, v4
	v_add_co_ci_u32_e64 v5, s0, v7, v5, s0
	v_mov_b32_e32 v16, v8
	v_mad_u64_u32 v[8:9], null, s3, v20, v[9:10]
	v_add_co_u32 v9, s0, v6, v10
	v_add_co_ci_u32_e64 v10, s0, v7, v11, s0
	v_lshlrev_b64 v[19:20], 4, v[15:16]
	s_clause 0x1
	global_load_dwordx4 v[36:39], v[4:5], off
	global_load_dwordx4 v[12:15], v[9:10], off
	v_mov_b32_e32 v18, v8
	v_mov_b32_e32 v8, v22
	v_add_co_u32 v4, s0, v6, v19
	v_lshlrev_b64 v[9:10], 4, v[17:18]
	v_add_co_ci_u32_e64 v5, s0, v7, v20, s0
	v_mad_u64_u32 v[19:20], null, s2, v25, 0
	v_mad_u64_u32 v[16:17], null, s3, v23, v[8:9]
	;; [unrolled: 1-line block ×3, first 2 shown]
	v_add_co_u32 v8, s0, v6, v9
	v_add_co_ci_u32_e64 v9, s0, v7, v10, s0
	v_mov_b32_e32 v22, v16
	v_mov_b32_e32 v11, v20
	v_mov_b32_e32 v10, v18
	v_add_nc_u32_e32 v16, 0x3ab, v152
	v_mad_u64_u32 v[23:24], null, s3, v24, v[10:11]
	v_mad_u64_u32 v[30:31], null, s2, v16, 0
	v_mov_b32_e32 v18, v23
	s_waitcnt vmcnt(0)
	v_mad_u64_u32 v[10:11], null, s3, v25, v[11:12]
	s_clause 0x1
	global_load_dwordx4 v[32:35], v[4:5], off
	global_load_dwordx4 v[24:27], v[8:9], off
	v_mov_b32_e32 v4, v29
	v_lshlrev_b64 v[8:9], 4, v[21:22]
	v_mad_u64_u32 v[4:5], null, s3, v107, v[4:5]
	v_mov_b32_e32 v5, v31
	v_mov_b32_e32 v20, v10
	v_lshlrev_b64 v[10:11], 4, v[17:18]
	v_add_co_u32 v8, s0, v6, v8
	v_mad_u64_u32 v[16:17], null, s3, v16, v[5:6]
	v_lshlrev_b64 v[17:18], 4, v[19:20]
	v_mov_b32_e32 v29, v4
	v_add_co_ci_u32_e64 v9, s0, v7, v9, s0
	v_add_co_u32 v4, s0, v6, v10
	v_mov_b32_e32 v31, v16
	v_add_co_ci_u32_e64 v5, s0, v7, v11, s0
	v_lshlrev_b64 v[10:11], 4, v[28:29]
	v_add_co_u32 v16, s0, v6, v17
	v_add_co_ci_u32_e64 v17, s0, v7, v18, s0
	v_lshlrev_b64 v[18:19], 4, v[30:31]
	v_add_co_u32 v10, s0, v6, v10
	v_add_co_ci_u32_e64 v11, s0, v7, v11, s0
	v_add_co_u32 v6, s0, v6, v18
	v_add_co_ci_u32_e64 v7, s0, v7, v19, s0
	s_clause 0x4
	global_load_dwordx4 v[28:31], v[8:9], off
	global_load_dwordx4 v[20:23], v[4:5], off
	;; [unrolled: 1-line block ×5, first 2 shown]
.LBB0_11:
	s_or_b32 exec_lo, exec_lo, s4
.LBB0_12:
	s_or_b32 exec_lo, exec_lo, s1
	s_waitcnt vmcnt(0)
	v_add_f64 v[109:110], v[44:45], v[100:101]
	s_mov_b32 s4, 0x1ea71119
	s_mov_b32 s5, 0x3fe22d96
	v_add_f64 v[107:108], v[102:103], -v[46:47]
	v_add_f64 v[113:114], v[48:49], v[88:89]
	v_add_f64 v[119:120], v[100:101], v[40:41]
	s_mov_b32 s16, 0x42a4c3d2
	s_mov_b32 s6, 0xb2365da1
	;; [unrolled: 1-line block ×8, first 2 shown]
	v_add_f64 v[111:112], v[90:91], -v[50:51]
	v_add_f64 v[131:132], v[56:57], v[72:73]
	s_mov_b32 s20, 0x2ef20147
	s_mov_b32 s18, 0x66966769
	;; [unrolled: 1-line block ×6, first 2 shown]
	v_mul_f64 v[115:116], v[109:110], s[4:5]
	v_mul_f64 v[117:118], v[109:110], s[14:15]
	;; [unrolled: 1-line block ×5, first 2 shown]
	v_add_f64 v[119:120], v[88:89], v[119:120]
	s_mov_b32 s11, 0xbfef11f4
	s_mov_b32 s39, 0x3fe5384d
	v_add_f64 v[133:134], v[74:75], -v[58:59]
	v_add_f64 v[137:138], v[68:69], v[76:77]
	v_mul_f64 v[141:142], v[113:114], s[10:11]
	v_mul_f64 v[143:144], v[113:114], s[24:25]
	;; [unrolled: 1-line block ×3, first 2 shown]
	s_mov_b32 s22, 0x4bc48dbf
	s_mov_b32 s26, 0xe00740e9
	v_mul_f64 v[157:158], v[131:132], s[10:11]
	s_mov_b32 s23, 0x3fcea1e5
	s_mov_b32 s31, 0xbfe5384d
	;; [unrolled: 1-line block ×6, first 2 shown]
	v_fma_f64 v[121:122], v[107:108], s[16:17], v[115:116]
	v_fma_f64 v[123:124], v[107:108], s[18:19], v[117:118]
	;; [unrolled: 1-line block ×5, first 2 shown]
	v_add_f64 v[179:180], v[72:73], v[119:120]
	v_add_f64 v[139:140], v[78:79], -v[70:71]
	v_add_f64 v[147:148], v[84:85], v[64:65]
	v_mul_f64 v[159:160], v[131:132], s[6:7]
	v_mul_f64 v[163:164], v[131:132], s[26:27]
	v_fma_f64 v[167:168], v[111:112], s[22:23], v[141:142]
	v_fma_f64 v[169:170], v[111:112], s[30:31], v[143:144]
	v_mul_f64 v[181:182], v[137:138], s[24:25]
	v_fma_f64 v[193:194], v[111:112], s[40:41], v[161:162]
	s_mov_b32 s34, 0x4267c47c
	v_fma_f64 v[189:190], v[133:134], s[22:23], v[157:158]
	s_mov_b32 s29, 0xbfedeba7
	s_mov_b32 s35, 0x3fddbe06
	;; [unrolled: 1-line block ×5, first 2 shown]
	v_add_f64 v[149:150], v[66:67], -v[86:87]
	v_add_f64 v[173:174], v[40:41], v[121:122]
	v_add_f64 v[175:176], v[40:41], v[123:124]
	;; [unrolled: 1-line block ×5, first 2 shown]
	v_add_f64 v[127:128], v[62:63], -v[6:7]
	v_add_f64 v[121:122], v[8:9], v[92:93]
	v_mul_f64 v[183:184], v[137:138], s[26:27]
	v_mul_f64 v[185:186], v[131:132], s[4:5]
	v_mul_f64 v[187:188], v[137:138], s[14:15]
	v_fma_f64 v[191:192], v[133:134], s[28:29], v[159:160]
	v_fma_f64 v[195:196], v[133:134], s[42:43], v[163:164]
	v_mul_f64 v[203:204], v[109:110], s[10:11]
	v_mul_f64 v[211:212], v[109:110], s[26:27]
	v_fma_f64 v[213:214], v[139:140], s[30:31], v[181:182]
	s_mov_b32 s37, 0xbfcea1e5
	s_mov_b32 s45, 0xbfea55e2
	;; [unrolled: 1-line block ×4, first 2 shown]
	v_add_f64 v[125:126], v[94:95], -v[10:11]
	v_add_f64 v[119:120], v[16:17], v[52:53]
	v_fma_f64 v[129:130], v[107:108], s[28:29], v[129:130]
	v_add_f64 v[165:166], v[165:166], v[173:174]
	v_add_f64 v[173:174], v[76:77], v[179:180]
	;; [unrolled: 1-line block ×4, first 2 shown]
	v_mul_f64 v[175:176], v[147:148], s[14:15]
	v_add_f64 v[171:172], v[193:194], v[171:172]
	v_mul_f64 v[193:194], v[113:114], s[4:5]
	v_mul_f64 v[177:178], v[147:148], s[4:5]
	v_fma_f64 v[215:216], v[139:140], s[42:43], v[183:184]
	v_fma_f64 v[217:218], v[133:134], s[16:17], v[185:186]
	;; [unrolled: 1-line block ×3, first 2 shown]
	v_mul_f64 v[109:110], v[121:122], s[4:5]
	v_fma_f64 v[225:226], v[107:108], s[22:23], v[203:204]
	v_fma_f64 v[203:204], v[107:108], s[36:37], v[203:204]
	;; [unrolled: 1-line block ×10, first 2 shown]
	v_add_f64 v[165:166], v[189:190], v[165:166]
	v_mul_f64 v[189:190], v[113:114], s[26:27]
	v_mul_f64 v[113:114], v[123:124], s[26:27]
	v_add_f64 v[173:174], v[64:65], v[173:174]
	v_add_f64 v[167:168], v[191:192], v[167:168]
	;; [unrolled: 1-line block ×3, first 2 shown]
	v_fma_f64 v[195:196], v[149:150], s[40:41], v[175:176]
	v_mul_f64 v[191:192], v[131:132], s[24:25]
	v_fma_f64 v[221:222], v[149:150], s[16:17], v[177:178]
	v_add_f64 v[171:172], v[217:218], v[171:172]
	v_add_f64 v[129:130], v[40:41], v[129:130]
	v_mul_f64 v[131:132], v[131:132], s[14:15]
	v_mul_f64 v[199:200], v[137:138], s[10:11]
	v_add_f64 v[203:204], v[40:41], v[203:204]
	v_add_f64 v[145:146], v[40:41], v[145:146]
	;; [unrolled: 1-line block ×6, first 2 shown]
	v_mul_f64 v[117:118], v[119:120], s[14:15]
	v_fma_f64 v[157:158], v[133:134], s[36:37], v[157:158]
	v_fma_f64 v[159:160], v[133:134], s[20:21], v[159:160]
	v_add_f64 v[165:166], v[213:214], v[165:166]
	v_fma_f64 v[217:218], v[111:112], s[42:43], v[189:190]
	v_fma_f64 v[211:212], v[127:128], s[42:43], v[113:114]
	v_add_f64 v[173:174], v[96:97], v[173:174]
	v_add_f64 v[167:168], v[215:216], v[167:168]
	v_add_f64 v[169:170], v[219:220], v[169:170]
	v_fma_f64 v[189:190], v[111:112], s[34:35], v[189:190]
	v_add_f64 v[219:220], v[40:41], v[225:226]
	v_fma_f64 v[225:226], v[111:112], s[28:29], v[135:136]
	v_add_f64 v[135:136], v[54:55], -v[18:19]
	v_add_f64 v[40:41], v[20:21], v[36:37]
	v_add_f64 v[143:144], v[143:144], v[129:130]
	;; [unrolled: 1-line block ×3, first 2 shown]
	v_mul_f64 v[201:202], v[147:148], s[10:11]
	v_add_f64 v[145:146], v[161:162], v[145:146]
	v_fma_f64 v[161:162], v[133:134], s[34:35], v[163:164]
	v_fma_f64 v[163:164], v[133:134], s[44:45], v[185:186]
	v_add_f64 v[141:142], v[141:142], v[233:234]
	v_mul_f64 v[205:206], v[147:148], s[26:27]
	v_fma_f64 v[227:228], v[139:140], s[36:37], v[199:200]
	v_add_f64 v[155:156], v[98:99], -v[82:83]
	v_fma_f64 v[175:176], v[149:150], s[18:19], v[175:176]
	v_add_f64 v[165:166], v[195:196], v[165:166]
	v_fma_f64 v[195:196], v[111:112], s[16:17], v[193:194]
	v_fma_f64 v[111:112], v[111:112], s[44:45], v[193:194]
	v_add_f64 v[193:194], v[0:1], v[211:212]
	v_fma_f64 v[211:212], v[125:126], s[44:45], v[109:110]
	v_add_f64 v[173:174], v[80:81], v[173:174]
	v_add_f64 v[167:168], v[221:222], v[167:168]
	;; [unrolled: 1-line block ×3, first 2 shown]
	v_fma_f64 v[219:220], v[133:134], s[38:39], v[191:192]
	v_add_f64 v[189:190], v[189:190], v[203:204]
	v_mul_f64 v[203:204], v[137:138], s[4:5]
	v_fma_f64 v[191:192], v[133:134], s[30:31], v[191:192]
	v_add_f64 v[115:116], v[225:226], v[115:116]
	v_mul_f64 v[221:222], v[137:138], s[6:7]
	v_add_f64 v[137:138], v[38:39], -v[22:23]
	v_mul_f64 v[129:130], v[40:41], s[6:7]
	v_add_f64 v[143:144], v[161:162], v[143:144]
	v_add_f64 v[145:146], v[163:164], v[145:146]
	v_fma_f64 v[161:162], v[139:140], s[40:41], v[187:188]
	v_fma_f64 v[163:164], v[139:140], s[22:23], v[199:200]
	v_add_f64 v[141:142], v[159:160], v[141:142]
	v_fma_f64 v[159:160], v[139:140], s[38:39], v[181:182]
	v_fma_f64 v[181:182], v[139:140], s[34:35], v[183:184]
	;; [unrolled: 3-line block ×3, first 2 shown]
	v_add_f64 v[107:108], v[111:112], v[107:108]
	v_add_f64 v[133:134], v[211:212], v[193:194]
	v_fma_f64 v[193:194], v[135:136], s[40:41], v[117:118]
	v_add_f64 v[111:112], v[28:29], v[12:13]
	v_add_f64 v[173:174], v[84:85], v[173:174]
	;; [unrolled: 1-line block ×3, first 2 shown]
	v_fma_f64 v[217:218], v[139:140], s[44:45], v[203:204]
	v_add_f64 v[189:190], v[191:192], v[189:190]
	v_fma_f64 v[191:192], v[139:140], s[16:17], v[203:204]
	v_mul_f64 v[203:204], v[147:148], s[6:7]
	v_add_f64 v[157:158], v[157:158], v[115:116]
	v_mul_f64 v[147:148], v[147:148], s[24:25]
	v_fma_f64 v[187:188], v[139:140], s[28:29], v[221:222]
	v_add_f64 v[115:116], v[24:25], v[32:33]
	v_mul_f64 v[179:180], v[153:154], s[26:27]
	v_mul_f64 v[197:198], v[153:154], s[24:25]
	;; [unrolled: 1-line block ×4, first 2 shown]
	v_fma_f64 v[229:230], v[149:150], s[36:37], v[201:202]
	v_fma_f64 v[215:216], v[149:150], s[42:43], v[205:206]
	v_add_f64 v[183:184], v[195:196], v[185:186]
	v_fma_f64 v[185:186], v[139:140], s[20:21], v[221:222]
	v_add_f64 v[107:108], v[131:132], v[107:108]
	v_add_f64 v[139:140], v[14:15], -v[30:31]
	v_add_f64 v[133:134], v[193:194], v[133:134]
	v_fma_f64 v[193:194], v[137:138], s[28:29], v[129:130]
	v_mul_f64 v[131:132], v[111:112], s[24:25]
	v_add_f64 v[173:174], v[68:69], v[173:174]
	v_add_f64 v[143:144], v[161:162], v[143:144]
	;; [unrolled: 1-line block ×4, first 2 shown]
	v_fma_f64 v[191:192], v[149:150], s[20:21], v[203:204]
	v_fma_f64 v[199:200], v[149:150], s[28:29], v[203:204]
	v_mul_f64 v[203:204], v[153:154], s[14:15]
	v_fma_f64 v[161:162], v[149:150], s[22:23], v[201:202]
	v_fma_f64 v[163:164], v[149:150], s[34:35], v[205:206]
	v_add_f64 v[157:158], v[159:160], v[157:158]
	v_add_f64 v[159:160], v[181:182], v[141:142]
	v_fma_f64 v[177:178], v[149:150], s[44:45], v[177:178]
	v_mul_f64 v[153:154], v[153:154], s[10:11]
	v_add_f64 v[141:142], v[34:35], -v[26:27]
	v_add_f64 v[171:172], v[227:228], v[171:172]
	v_add_f64 v[195:196], v[217:218], v[211:212]
	;; [unrolled: 1-line block ×3, first 2 shown]
	v_fma_f64 v[183:184], v[149:150], s[38:39], v[147:148]
	v_fma_f64 v[147:148], v[149:150], s[30:31], v[147:148]
	v_add_f64 v[107:108], v[187:188], v[107:108]
	v_add_f64 v[149:150], v[193:194], v[133:134]
	v_fma_f64 v[185:186], v[139:140], s[30:31], v[131:132]
	v_mul_f64 v[133:134], v[115:116], s[10:11]
	v_add_f64 v[173:174], v[56:57], v[173:174]
	v_fma_f64 v[223:224], v[155:156], s[42:43], v[179:180]
	v_fma_f64 v[213:214], v[155:156], s[38:39], v[197:198]
	v_add_f64 v[169:170], v[229:230], v[169:170]
	v_fma_f64 v[187:188], v[155:156], s[44:45], v[207:208]
	v_fma_f64 v[193:194], v[155:156], s[20:21], v[209:210]
	v_add_f64 v[143:144], v[161:162], v[143:144]
	v_add_f64 v[145:146], v[163:164], v[145:146]
	v_fma_f64 v[161:162], v[155:156], s[16:17], v[207:208]
	v_fma_f64 v[163:164], v[155:156], s[28:29], v[209:210]
	v_add_f64 v[157:158], v[175:176], v[157:158]
	v_fma_f64 v[175:176], v[155:156], s[34:35], v[179:180]
	v_add_f64 v[159:160], v[177:178], v[159:160]
	v_add_f64 v[171:172], v[215:216], v[171:172]
	v_fma_f64 v[177:178], v[155:156], s[30:31], v[197:198]
	v_add_f64 v[191:192], v[191:192], v[195:196]
	v_add_f64 v[179:180], v[183:184], v[181:182]
	v_fma_f64 v[181:182], v[155:156], s[22:23], v[153:154]
	v_fma_f64 v[153:154], v[155:156], s[36:37], v[153:154]
	v_add_f64 v[107:108], v[147:148], v[107:108]
	v_add_f64 v[147:148], v[185:186], v[149:150]
	v_fma_f64 v[149:150], v[141:142], s[36:37], v[133:134]
	v_add_f64 v[189:190], v[199:200], v[189:190]
	v_fma_f64 v[195:196], v[155:156], s[40:41], v[203:204]
	v_fma_f64 v[199:200], v[155:156], s[18:19], v[203:204]
	v_add_f64 v[173:174], v[48:49], v[173:174]
	v_mul_hi_u32 v151, 0xaaaaaaab, v106
	v_add_f64 v[155:156], v[223:224], v[165:166]
	v_add_f64 v[165:166], v[213:214], v[167:168]
	;; [unrolled: 1-line block ×5, first 2 shown]
	v_cmp_gt_u32_e64 s0, 36, v152
	v_add_f64 v[157:158], v[175:176], v[157:158]
	v_lshrrev_b32_e32 v151, 1, v151
	v_add_f64 v[169:170], v[193:194], v[171:172]
	v_add_f64 v[159:160], v[177:178], v[159:160]
	v_lshl_add_u32 v151, v151, 1, v151
	v_add_f64 v[163:164], v[181:182], v[179:180]
	v_add_f64 v[153:154], v[153:154], v[107:108]
	v_mad_u32_u24 v108, 0x68, v152, 0
	v_sub_nc_u32_e32 v151, v106, v151
	v_add_f64 v[106:107], v[149:150], v[147:148]
	v_add_f64 v[171:172], v[195:196], v[191:192]
	;; [unrolled: 1-line block ×4, first 2 shown]
	v_mul_u32_u24_e32 v144, 0x3cf, v151
	v_lshl_add_u32 v143, v144, 3, v108
	ds_write2_b64 v143, v[155:156], v[165:166] offset0:2 offset1:3
	ds_write2_b64 v143, v[167:168], v[169:170] offset0:4 offset1:5
	;; [unrolled: 1-line block ×5, first 2 shown]
	ds_write2_b64 v143, v[173:174], v[163:164] offset1:1
	ds_write_b64 v143, v[153:154] offset:96
	s_and_saveexec_b32 s1, s0
	s_cbranch_execz .LBB0_14
; %bb.13:
	v_add_f64 v[145:146], v[60:61], v[0:1]
	v_mul_f64 v[147:148], v[127:128], s[42:43]
	v_mul_f64 v[171:172], v[127:128], s[36:37]
	;; [unrolled: 1-line block ×21, first 2 shown]
	v_add_f64 v[145:146], v[92:93], v[145:146]
	v_add_f64 v[113:114], v[113:114], -v[147:148]
	v_fma_f64 v[219:220], v[123:124], s[10:11], v[171:172]
	v_fma_f64 v[171:172], v[123:124], s[10:11], -v[171:172]
	v_fma_f64 v[221:222], v[123:124], s[24:25], v[183:184]
	v_fma_f64 v[183:184], v[123:124], s[24:25], -v[183:184]
	;; [unrolled: 2-line block ×3, first 2 shown]
	v_fma_f64 v[227:228], v[123:124], s[4:5], -v[127:128]
	v_fma_f64 v[195:196], v[123:124], s[6:7], -v[195:196]
	v_fma_f64 v[199:200], v[123:124], s[14:15], v[199:200]
	v_fma_f64 v[123:124], v[123:124], s[4:5], v[127:128]
	;; [unrolled: 1-line block ×5, first 2 shown]
	v_fma_f64 v[207:208], v[121:122], s[10:11], -v[207:208]
	v_fma_f64 v[231:232], v[121:122], s[6:7], v[125:126]
	v_add_f64 v[108:109], v[109:110], -v[149:150]
	v_mul_f64 v[189:190], v[137:138], s[40:41]
	v_mul_f64 v[203:204], v[137:138], s[34:35]
	;; [unrolled: 1-line block ×3, first 2 shown]
	v_fma_f64 v[215:216], v[119:120], s[24:25], v[167:168]
	v_add_f64 v[145:146], v[52:53], v[145:146]
	v_fma_f64 v[233:234], v[119:120], s[10:11], v[135:136]
	v_add_f64 v[117:118], v[117:118], -v[153:154]
	v_add_f64 v[149:150], v[0:1], v[171:172]
	v_add_f64 v[171:172], v[0:1], v[221:222]
	;; [unrolled: 1-line block ×3, first 2 shown]
	v_mul_f64 v[157:158], v[139:140], s[30:31]
	v_add_f64 v[221:222], v[0:1], v[225:226]
	v_fma_f64 v[225:226], v[119:120], s[26:27], v[191:192]
	v_add_f64 v[195:196], v[0:1], v[195:196]
	v_add_f64 v[199:200], v[0:1], v[199:200]
	;; [unrolled: 1-line block ×3, first 2 shown]
	v_fma_f64 v[191:192], v[119:120], s[26:27], -v[191:192]
	v_mul_f64 v[163:164], v[139:140], s[28:29]
	v_mul_f64 v[175:176], v[139:140], s[34:35]
	v_mul_f64 v[187:188], v[139:140], s[22:23]
	v_mul_f64 v[201:202], v[139:140], s[44:45]
	v_mul_f64 v[139:140], v[139:140], s[18:19]
	v_fma_f64 v[213:214], v[40:41], s[4:5], v[165:166]
	v_add_f64 v[129:130], v[129:130], -v[155:156]
	v_mul_f64 v[159:160], v[141:142], s[36:37]
	v_mul_f64 v[161:162], v[141:142], s[18:19]
	v_add_f64 v[145:146], v[36:37], v[145:146]
	v_mul_f64 v[173:174], v[141:142], s[28:29]
	v_mul_f64 v[185:186], v[141:142], s[16:17]
	;; [unrolled: 1-line block ×4, first 2 shown]
	v_add_f64 v[131:132], v[131:132], -v[157:158]
	v_add_f64 v[153:154], v[207:208], v[221:222]
	v_add_f64 v[123:124], v[231:232], v[123:124]
	v_fma_f64 v[211:212], v[111:112], s[6:7], v[163:164]
	v_fma_f64 v[155:156], v[111:112], s[26:27], -v[175:176]
	v_add_f64 v[133:134], v[133:134], -v[159:160]
	v_fma_f64 v[209:210], v[115:116], s[14:15], v[161:162]
	v_add_f64 v[145:146], v[12:13], v[145:146]
	v_fma_f64 v[157:158], v[115:116], s[4:5], -v[185:186]
	v_add_f64 v[123:124], v[233:234], v[123:124]
	v_add_f64 v[127:128], v[32:33], v[145:146]
	v_fma_f64 v[145:146], v[121:122], s[26:27], -v[169:170]
	v_fma_f64 v[169:170], v[121:122], s[14:15], -v[181:182]
	v_fma_f64 v[181:182], v[121:122], s[24:25], v[193:194]
	v_fma_f64 v[193:194], v[121:122], s[24:25], -v[193:194]
	v_fma_f64 v[121:122], v[121:122], s[6:7], -v[125:126]
	v_add_f64 v[125:126], v[0:1], v[219:220]
	v_add_f64 v[219:220], v[0:1], v[223:224]
	v_add_f64 v[223:224], v[0:1], v[227:228]
	v_add_f64 v[0:1], v[0:1], v[113:114]
	v_fma_f64 v[227:228], v[119:120], s[6:7], v[205:206]
	v_fma_f64 v[205:206], v[119:120], s[6:7], -v[205:206]
	v_add_f64 v[113:114], v[24:25], v[127:128]
	v_fma_f64 v[127:128], v[119:120], s[24:25], -v[167:168]
	v_fma_f64 v[167:168], v[119:120], s[4:5], v[179:180]
	v_fma_f64 v[179:180], v[119:120], s[4:5], -v[179:180]
	v_fma_f64 v[119:120], v[119:120], s[10:11], -v[135:136]
	v_add_f64 v[135:136], v[145:146], v[149:150]
	v_add_f64 v[125:126], v[217:218], v[125:126]
	;; [unrolled: 1-line block ×9, first 2 shown]
	v_fma_f64 v[181:182], v[40:41], s[14:15], v[189:190]
	v_fma_f64 v[183:184], v[40:41], s[14:15], -v[189:190]
	v_fma_f64 v[189:190], v[40:41], s[26:27], v[203:204]
	v_fma_f64 v[193:194], v[40:41], s[26:27], -v[203:204]
	v_fma_f64 v[195:196], v[40:41], s[24:25], v[137:138]
	v_add_f64 v[108:109], v[28:29], v[113:114]
	v_fma_f64 v[113:114], v[40:41], s[4:5], -v[165:166]
	v_fma_f64 v[165:166], v[40:41], s[10:11], v[177:178]
	v_fma_f64 v[177:178], v[40:41], s[10:11], -v[177:178]
	v_fma_f64 v[40:41], v[40:41], s[24:25], -v[137:138]
	v_add_f64 v[127:128], v[127:128], v[135:136]
	v_add_f64 v[125:126], v[215:216], v[125:126]
	;; [unrolled: 1-line block ×10, first 2 shown]
	v_fma_f64 v[117:118], v[111:112], s[6:7], -v[163:164]
	v_fma_f64 v[153:154], v[111:112], s[26:27], v[175:176]
	v_fma_f64 v[163:164], v[111:112], s[10:11], v[187:188]
	v_fma_f64 v[167:168], v[111:112], s[10:11], -v[187:188]
	v_fma_f64 v[169:170], v[111:112], s[4:5], v[201:202]
	v_fma_f64 v[171:172], v[111:112], s[4:5], -v[201:202]
	v_fma_f64 v[175:176], v[111:112], s[14:15], v[139:140]
	v_add_f64 v[108:109], v[20:21], v[108:109]
	v_fma_f64 v[110:111], v[111:112], s[14:15], -v[139:140]
	v_add_f64 v[123:124], v[195:196], v[123:124]
	v_add_f64 v[112:113], v[113:114], v[127:128]
	;; [unrolled: 1-line block ×11, first 2 shown]
	v_fma_f64 v[129:130], v[115:116], s[14:15], -v[161:162]
	v_fma_f64 v[145:146], v[115:116], s[6:7], v[173:174]
	v_fma_f64 v[147:148], v[115:116], s[6:7], -v[173:174]
	v_fma_f64 v[149:150], v[115:116], s[4:5], v[185:186]
	v_fma_f64 v[161:162], v[115:116], s[24:25], v[197:198]
	v_fma_f64 v[165:166], v[115:116], s[24:25], -v[197:198]
	v_fma_f64 v[173:174], v[115:116], s[26:27], v[141:142]
	v_add_f64 v[108:109], v[16:17], v[108:109]
	v_fma_f64 v[114:115], v[115:116], s[26:27], -v[141:142]
	v_add_f64 v[112:113], v[117:118], v[112:113]
	v_add_f64 v[125:126], v[211:212], v[125:126]
	;; [unrolled: 1-line block ×11, first 2 shown]
	v_add_nc_u32_e32 v131, 0x1008, v143
	v_add_nc_u32_e32 v132, 0x1018, v143
	v_add_f64 v[108:109], v[8:9], v[108:109]
	v_add_f64 v[112:113], v[129:130], v[112:113]
	;; [unrolled: 1-line block ×12, first 2 shown]
	v_add_nc_u32_e32 v121, 0xfe8, v143
	v_add_nc_u32_e32 v130, 0xff8, v143
	;; [unrolled: 1-line block ×4, first 2 shown]
	v_add_f64 v[108:109], v[4:5], v[108:109]
	ds_write2_b64 v121, v[40:41], v[128:129] offset1:1
	ds_write2_b64 v130, v[110:111], v[124:125] offset1:1
	;; [unrolled: 1-line block ×6, first 2 shown]
	ds_write_b64 v143, v[106:107] offset:4152
.LBB0_14:
	s_or_b32 exec_lo, exec_lo, s1
	v_add_f64 v[0:1], v[102:103], v[42:43]
	v_add_f64 v[44:45], v[100:101], -v[44:45]
	v_add_f64 v[114:115], v[60:61], -v[4:5]
	v_add_f64 v[40:41], v[46:47], v[102:103]
	v_add_f64 v[116:117], v[50:51], v[90:91]
	v_add_f64 v[48:49], v[88:89], -v[48:49]
	v_add_f64 v[80:81], v[96:97], -v[80:81]
	;; [unrolled: 1-line block ×3, first 2 shown]
	v_add_f64 v[102:103], v[6:7], v[62:63]
	v_add_f64 v[28:29], v[12:13], -v[28:29]
	v_add_f64 v[12:13], v[32:33], -v[24:25]
	v_add_f64 v[56:57], v[72:73], -v[56:57]
	v_add_f64 v[72:73], v[70:71], v[78:79]
	v_add_f64 v[68:69], v[76:77], -v[68:69]
	v_add_f64 v[64:65], v[64:65], -v[84:85]
	v_add_f64 v[100:101], v[10:11], v[94:95]
	v_add_f64 v[52:53], v[52:53], -v[16:17]
	v_add_f64 v[88:89], v[58:59], v[74:75]
	v_add_f64 v[76:77], v[86:87], v[66:67]
	;; [unrolled: 1-line block ×3, first 2 shown]
	v_add_f64 v[20:21], v[36:37], -v[20:21]
	v_add_f64 v[84:85], v[82:83], v[98:99]
	v_add_f64 v[0:1], v[90:91], v[0:1]
	v_mul_f64 v[90:91], v[44:45], s[42:43]
	v_mul_f64 v[92:93], v[44:45], s[44:45]
	;; [unrolled: 1-line block ×21, first 2 shown]
	v_add_f64 v[0:1], v[74:75], v[0:1]
	v_fma_f64 v[165:166], v[40:41], s[26:27], v[90:91]
	v_fma_f64 v[90:91], v[40:41], s[26:27], -v[90:91]
	v_fma_f64 v[167:168], v[40:41], s[4:5], v[92:93]
	v_fma_f64 v[92:93], v[40:41], s[4:5], -v[92:93]
	;; [unrolled: 2-line block ×9, first 2 shown]
	v_mul_f64 v[74:75], v[68:69], s[28:29]
	v_mul_f64 v[147:148], v[68:69], s[34:35]
	;; [unrolled: 1-line block ×3, first 2 shown]
	v_add_f64 v[0:1], v[78:79], v[0:1]
	v_fma_f64 v[78:79], v[40:41], s[14:15], v[96:97]
	v_fma_f64 v[96:97], v[40:41], s[14:15], -v[96:97]
	v_fma_f64 v[40:41], v[40:41], s[10:11], -v[44:45]
	v_fma_f64 v[44:45], v[116:117], s[4:5], v[122:123]
	v_fma_f64 v[122:123], v[116:117], s[4:5], -v[122:123]
	v_add_f64 v[165:166], v[42:43], v[165:166]
	v_add_f64 v[90:91], v[42:43], v[90:91]
	;; [unrolled: 1-line block ×8, first 2 shown]
	v_mul_f64 v[153:154], v[68:69], s[22:23]
	v_mul_f64 v[68:69], v[68:69], s[16:17]
	v_mul_f64 v[155:156], v[64:65], s[30:31]
	v_mul_f64 v[157:158], v[64:65], s[18:19]
	v_mul_f64 v[36:37], v[52:53], s[40:41]
	v_fma_f64 v[183:184], v[116:117], s[26:27], v[48:49]
	v_fma_f64 v[48:49], v[116:117], s[26:27], -v[48:49]
	v_add_f64 v[173:174], v[42:43], v[173:174]
	v_add_f64 v[0:1], v[66:67], v[0:1]
	;; [unrolled: 1-line block ×5, first 2 shown]
	v_fma_f64 v[199:200], v[100:101], s[4:5], -v[32:33]
	v_add_f64 v[193:194], v[2:3], v[193:194]
	v_fma_f64 v[116:117], v[88:89], s[14:15], v[132:133]
	v_fma_f64 v[66:67], v[88:89], s[14:15], -v[132:133]
	v_fma_f64 v[132:133], v[88:89], s[10:11], v[134:135]
	v_fma_f64 v[134:135], v[88:89], s[10:11], -v[134:135]
	;; [unrolled: 2-line block ×5, first 2 shown]
	v_add_f64 v[44:45], v[44:45], v[165:166]
	v_add_f64 v[90:91], v[122:123], v[90:91]
	;; [unrolled: 1-line block ×12, first 2 shown]
	v_mul_f64 v[110:111], v[20:21], s[28:29]
	v_fma_f64 v[191:192], v[88:89], s[24:25], v[56:57]
	v_fma_f64 v[56:57], v[88:89], s[24:25], -v[56:57]
	v_fma_f64 v[88:89], v[72:73], s[6:7], v[74:75]
	v_fma_f64 v[74:75], v[72:73], s[6:7], -v[74:75]
	;; [unrolled: 2-line block ×5, first 2 shown]
	v_fma_f64 v[197:198], v[72:73], s[10:11], v[153:154]
	v_add_f64 v[128:129], v[183:184], v[173:174]
	v_add_f64 v[40:41], v[48:49], v[40:41]
	v_fma_f64 v[48:49], v[72:73], s[4:5], v[68:69]
	v_fma_f64 v[68:69], v[72:73], s[4:5], -v[68:69]
	v_add_f64 v[0:1], v[82:83], v[0:1]
	v_fma_f64 v[82:83], v[72:73], s[10:11], -v[153:154]
	v_fma_f64 v[72:73], v[76:77], s[24:25], v[155:156]
	v_fma_f64 v[130:131], v[76:77], s[24:25], -v[155:156]
	v_fma_f64 v[153:154], v[76:77], s[14:15], v[157:158]
	v_fma_f64 v[155:156], v[76:77], s[14:15], -v[157:158]
	v_fma_f64 v[157:158], v[60:61], s[14:15], -v[36:37]
	v_add_f64 v[165:166], v[199:200], v[193:194]
	v_mul_f64 v[159:160], v[64:65], s[44:45]
	v_mul_f64 v[161:162], v[64:65], s[22:23]
	;; [unrolled: 1-line block ×4, first 2 shown]
	v_add_f64 v[44:45], v[116:117], v[44:45]
	v_add_f64 v[66:67], v[66:67], v[90:91]
	;; [unrolled: 1-line block ×12, first 2 shown]
	v_mul_f64 v[112:113], v[28:29], s[30:31]
	v_add_f64 v[124:125], v[191:192], v[128:129]
	v_add_f64 v[40:41], v[56:57], v[40:41]
	v_fma_f64 v[138:139], v[16:17], s[6:7], -v[110:111]
	v_add_f64 v[4:5], v[26:27], v[34:35]
	v_add_f64 v[140:141], v[157:158], v[165:166]
	v_fma_f64 v[86:87], v[76:77], s[4:5], v[159:160]
	v_fma_f64 v[56:57], v[76:77], s[4:5], -v[159:160]
	v_fma_f64 v[126:127], v[76:77], s[10:11], v[161:162]
	v_fma_f64 v[128:129], v[76:77], s[10:11], -v[161:162]
	;; [unrolled: 2-line block ×3, first 2 shown]
	v_fma_f64 v[136:137], v[76:77], s[6:7], v[64:65]
	v_add_f64 v[44:45], v[88:89], v[44:45]
	v_add_f64 v[66:67], v[74:75], v[66:67]
	;; [unrolled: 1-line block ×8, first 2 shown]
	v_fma_f64 v[64:65], v[76:77], s[6:7], -v[64:65]
	v_add_f64 v[70:71], v[149:150], v[118:119]
	v_add_f64 v[76:77], v[197:198], v[122:123]
	;; [unrolled: 1-line block ×3, first 2 shown]
	v_mul_f64 v[92:93], v[80:81], s[34:35]
	v_mul_f64 v[96:97], v[80:81], s[30:31]
	;; [unrolled: 1-line block ×4, first 2 shown]
	v_add_f64 v[48:49], v[48:49], v[124:125]
	v_add_f64 v[40:41], v[68:69], v[40:41]
	v_mul_f64 v[68:69], v[80:81], s[36:37]
	v_mul_f64 v[80:81], v[80:81], s[18:19]
	v_fma_f64 v[120:121], v[8:9], s[24:25], -v[112:113]
	v_add_f64 v[122:123], v[138:139], v[140:141]
	v_mul_f64 v[116:117], v[12:13], s[36:37]
	v_add_f64 v[44:45], v[72:73], v[44:45]
	v_add_f64 v[72:73], v[153:154], v[74:75]
	;; [unrolled: 1-line block ×11, first 2 shown]
	v_fma_f64 v[82:83], v[84:85], s[26:27], v[92:93]
	v_fma_f64 v[86:87], v[84:85], s[26:27], -v[92:93]
	v_fma_f64 v[88:89], v[84:85], s[24:25], v[96:97]
	v_fma_f64 v[90:91], v[84:85], s[24:25], -v[96:97]
	;; [unrolled: 2-line block ×4, first 2 shown]
	v_add_f64 v[48:49], v[136:137], v[48:49]
	v_add_f64 v[40:41], v[64:65], v[40:41]
	v_fma_f64 v[64:65], v[84:85], s[10:11], v[68:69]
	v_fma_f64 v[68:69], v[84:85], s[10:11], -v[68:69]
	v_fma_f64 v[124:125], v[84:85], s[14:15], v[80:81]
	v_fma_f64 v[80:81], v[84:85], s[14:15], -v[80:81]
	v_add_f64 v[84:85], v[120:121], v[122:123]
	v_fma_f64 v[120:121], v[4:5], s[10:11], -v[116:117]
	v_lshlrev_b32_e32 v126, 3, v152
	v_add_f64 v[0:1], v[50:51], v[0:1]
	v_lshlrev_b32_e32 v159, 3, v144
	s_waitcnt lgkmcnt(0)
	s_barrier
	v_add_nc_u32_e32 v122, 0, v126
	buffer_gl0_inv
	v_add3_u32 v157, 0, v159, v126
	v_add_f64 v[128:129], v[82:83], v[72:73]
	v_add_f64 v[130:131], v[86:87], v[42:43]
	v_add_nc_u32_e32 v158, v122, v159
	v_add_f64 v[132:133], v[88:89], v[74:75]
	v_add_f64 v[134:135], v[90:91], v[56:57]
	;; [unrolled: 1-line block ×4, first 2 shown]
	v_add_nc_u32_e32 v162, 0x1400, v158
	v_add_nc_u32_e32 v163, 0x1800, v158
	;; [unrolled: 1-line block ×5, first 2 shown]
	v_add_f64 v[122:123], v[64:65], v[44:45]
	v_add_f64 v[126:127], v[68:69], v[66:67]
	;; [unrolled: 1-line block ×8, first 2 shown]
	ds_read_b64 v[0:1], v157
	ds_read2_b64 v[96:99], v158 offset0:195 offset1:234
	ds_read2_b64 v[48:51], v160 offset0:95 offset1:134
	;; [unrolled: 1-line block ×12, first 2 shown]
	v_add_nc_u32_e32 v153, 39, v152
	s_waitcnt lgkmcnt(0)
	s_barrier
	buffer_gl0_inv
	ds_write2_b64 v143, v[119:120], v[122:123] offset1:1
	ds_write2_b64 v143, v[128:129], v[132:133] offset0:2 offset1:3
	ds_write2_b64 v143, v[136:137], v[140:141] offset0:4 offset1:5
	;; [unrolled: 1-line block ×5, first 2 shown]
	ds_write_b64 v143, v[126:127] offset:96
	s_and_saveexec_b32 s33, s0
	s_cbranch_execz .LBB0_16
; %bb.15:
	v_add_f64 v[62:63], v[62:63], v[2:3]
	s_mov_b32 s20, 0x42a4c3d2
	s_mov_b32 s28, 0x66966769
	v_mul_f64 v[125:126], v[8:9], s[24:25]
	s_mov_b32 s21, 0xbfea55e2
	s_mov_b32 s29, 0xbfefc445
	;; [unrolled: 1-line block ×6, first 2 shown]
	v_mul_f64 v[119:120], v[102:103], s[26:27]
	v_mul_f64 v[123:124], v[16:17], s[6:7]
	;; [unrolled: 1-line block ×3, first 2 shown]
	s_mov_b32 s23, 0xbfcea1e5
	s_mov_b32 s22, 0x4bc48dbf
	v_mul_f64 v[129:130], v[114:115], s[28:29]
	v_mul_f64 v[121:122], v[60:61], s[14:15]
	;; [unrolled: 1-line block ×4, first 2 shown]
	s_mov_b32 s0, 0x1ea71119
	s_mov_b32 s36, 0x4267c47c
	;; [unrolled: 1-line block ×3, first 2 shown]
	v_add_f64 v[62:63], v[94:95], v[62:63]
	v_mul_f64 v[94:95], v[100:101], s[4:5]
	s_mov_b32 s4, 0xebaa3ed8
	s_mov_b32 s5, 0x3fbedb7d
	;; [unrolled: 1-line block ×11, first 2 shown]
	v_mul_f64 v[135:136], v[108:109], s[18:19]
	v_mul_f64 v[137:138], v[108:109], s[22:23]
	;; [unrolled: 1-line block ×3, first 2 shown]
	v_add_f64 v[24:25], v[119:120], v[24:25]
	v_fma_f64 v[119:120], v[102:103], s[4:5], v[129:130]
	v_add_f64 v[36:37], v[121:122], v[36:37]
	v_fma_f64 v[121:122], v[102:103], s[6:7], v[131:132]
	s_mov_b32 s16, 0xe00740e9
	s_mov_b32 s17, 0x3fec55a7
	v_add_f64 v[54:55], v[54:55], v[62:63]
	v_mul_f64 v[62:63], v[114:115], s[20:21]
	v_mul_f64 v[114:115], v[114:115], s[22:23]
	v_add_f64 v[32:33], v[94:95], v[32:33]
	v_add_f64 v[94:95], v[123:124], v[110:111]
	;; [unrolled: 1-line block ×4, first 2 shown]
	v_fma_f64 v[123:124], v[102:103], s[6:7], -v[131:132]
	v_fma_f64 v[125:126], v[102:103], s[10:11], v[133:134]
	v_fma_f64 v[131:132], v[102:103], s[10:11], -v[133:134]
	s_mov_b32 s35, 0x3fedeba7
	s_mov_b32 s34, s18
	v_mul_f64 v[139:140], v[52:53], s[22:23]
	v_mul_f64 v[141:142], v[52:53], s[36:37]
	;; [unrolled: 1-line block ×5, first 2 shown]
	v_fma_f64 v[133:134], v[100:101], s[14:15], v[137:138]
	v_fma_f64 v[182:183], v[100:101], s[10:11], v[174:175]
	v_fma_f64 v[174:175], v[100:101], s[10:11], -v[174:175]
	v_add_f64 v[24:25], v[2:3], v[24:25]
	s_mov_b32 s39, 0x3fea55e2
	v_add_f64 v[38:39], v[38:39], v[54:55]
	v_mul_f64 v[54:55], v[108:109], s[36:37]
	v_mul_f64 v[108:109], v[108:109], s[26:27]
	v_fma_f64 v[116:117], v[102:103], s[0:1], v[62:63]
	v_fma_f64 v[62:63], v[102:103], s[0:1], -v[62:63]
	v_fma_f64 v[127:128], v[102:103], s[14:15], v[114:115]
	v_fma_f64 v[114:115], v[102:103], s[14:15], -v[114:115]
	v_fma_f64 v[102:103], v[102:103], s[4:5], -v[129:130]
	;; [unrolled: 1-line block ×3, first 2 shown]
	s_mov_b32 s23, 0x3fcea1e5
	s_mov_b32 s38, s20
	v_mul_f64 v[147:148], v[20:21], s[36:37]
	v_mul_f64 v[149:150], v[20:21], s[28:29]
	;; [unrolled: 1-line block ×5, first 2 shown]
	v_fma_f64 v[186:187], v[60:61], s[10:11], v[145:146]
	v_fma_f64 v[145:146], v[60:61], s[10:11], -v[145:146]
	v_fma_f64 v[188:189], v[60:61], s[6:7], v[52:53]
	v_fma_f64 v[52:53], v[60:61], s[6:7], -v[52:53]
	v_add_f64 v[24:25], v[32:33], v[24:25]
	v_mul_f64 v[154:155], v[28:29], s[20:21]
	v_add_f64 v[14:15], v[14:15], v[38:39]
	v_mul_f64 v[164:165], v[28:29], s[36:37]
	v_fma_f64 v[184:185], v[100:101], s[4:5], v[108:109]
	v_mul_f64 v[166:167], v[28:29], s[18:19]
	v_add_f64 v[62:63], v[2:3], v[62:63]
	v_mul_f64 v[38:39], v[28:29], s[26:27]
	v_add_f64 v[114:115], v[2:3], v[114:115]
	v_mul_f64 v[28:29], v[28:29], s[22:23]
	v_mul_f64 v[168:169], v[12:13], s[36:37]
	;; [unrolled: 1-line block ×6, first 2 shown]
	v_add_f64 v[14:15], v[34:35], v[14:15]
	v_fma_f64 v[34:35], v[100:101], s[6:7], v[135:136]
	v_fma_f64 v[135:136], v[100:101], s[14:15], -v[137:138]
	v_fma_f64 v[137:138], v[100:101], s[16:17], v[54:55]
	v_fma_f64 v[54:55], v[100:101], s[16:17], -v[54:55]
	v_fma_f64 v[100:101], v[100:101], s[4:5], -v[108:109]
	v_add_f64 v[108:109], v[2:3], v[116:117]
	v_add_f64 v[116:117], v[2:3], v[119:120]
	;; [unrolled: 1-line block ×8, first 2 shown]
	v_fma_f64 v[102:103], v[60:61], s[14:15], -v[139:140]
	v_fma_f64 v[131:132], v[60:61], s[16:17], v[141:142]
	v_add_f64 v[14:15], v[26:27], v[14:15]
	v_fma_f64 v[26:27], v[60:61], s[14:15], v[139:140]
	v_fma_f64 v[139:140], v[60:61], s[16:17], -v[141:142]
	v_fma_f64 v[141:142], v[60:61], s[0:1], v[143:144]
	v_fma_f64 v[143:144], v[60:61], s[0:1], -v[143:144]
	v_add_f64 v[54:55], v[54:55], v[114:115]
	v_add_f64 v[32:33], v[34:35], v[108:109]
	v_add_f64 v[60:61], v[133:134], v[116:117]
	v_add_f64 v[34:35], v[129:130], v[62:63]
	v_add_f64 v[62:63], v[182:183], v[119:120]
	v_add_f64 v[116:117], v[184:185], v[123:124]
	v_add_f64 v[108:109], v[174:175], v[121:122]
	v_add_f64 v[119:120], v[137:138], v[125:126]
	v_add_f64 v[100:101], v[100:101], v[127:128]
	v_add_f64 v[2:3], v[135:136], v[2:3]
	v_fma_f64 v[114:115], v[16:17], s[16:17], -v[147:148]
	v_fma_f64 v[121:122], v[16:17], s[4:5], v[149:150]
	v_fma_f64 v[123:124], v[16:17], s[4:5], -v[149:150]
	v_fma_f64 v[125:126], v[16:17], s[10:11], v[176:177]
	v_fma_f64 v[127:128], v[16:17], s[10:11], -v[176:177]
	v_fma_f64 v[129:130], v[16:17], s[14:15], v[178:179]
	v_fma_f64 v[133:134], v[16:17], s[14:15], -v[178:179]
	v_add_f64 v[14:15], v[30:31], v[14:15]
	v_fma_f64 v[30:31], v[16:17], s[16:17], v[147:148]
	v_fma_f64 v[135:136], v[16:17], s[0:1], v[20:21]
	v_fma_f64 v[16:17], v[16:17], s[0:1], -v[20:21]
	v_add_f64 v[20:21], v[36:37], v[24:25]
	v_add_f64 v[54:55], v[145:146], v[54:55]
	v_add_f64 v[24:25], v[26:27], v[32:33]
	v_add_f64 v[32:33], v[188:189], v[60:61]
	v_add_f64 v[26:27], v[102:103], v[34:35]
	v_add_f64 v[34:35], v[131:132], v[62:63]
	v_add_f64 v[60:61], v[141:142], v[116:117]
	v_add_f64 v[36:37], v[139:140], v[108:109]
	v_add_f64 v[62:63], v[186:187], v[119:120]
	v_add_f64 v[100:101], v[143:144], v[100:101]
	v_add_f64 v[2:3], v[52:53], v[2:3]
	v_fma_f64 v[52:53], v[8:9], s[0:1], -v[154:155]
	v_fma_f64 v[102:103], v[8:9], s[16:17], v[164:165]
	v_fma_f64 v[108:109], v[8:9], s[16:17], -v[164:165]
	v_fma_f64 v[116:117], v[8:9], s[6:7], v[166:167]
	v_fma_f64 v[119:120], v[8:9], s[6:7], -v[166:167]
	v_fma_f64 v[131:132], v[8:9], s[4:5], v[38:39]
	v_fma_f64 v[38:39], v[8:9], s[4:5], -v[38:39]
	v_add_f64 v[14:15], v[22:23], v[14:15]
	v_fma_f64 v[22:23], v[8:9], s[0:1], v[154:155]
	v_fma_f64 v[137:138], v[8:9], s[14:15], v[28:29]
	v_fma_f64 v[8:9], v[8:9], s[14:15], -v[28:29]
	v_add_f64 v[20:21], v[94:95], v[20:21]
	;; [unrolled: 22-line block ×3, first 2 shown]
	v_add_f64 v[16:17], v[119:120], v[16:17]
	v_add_f64 v[20:21], v[131:132], v[24:25]
	;; [unrolled: 1-line block ×23, first 2 shown]
	v_mul_u32_u24_e32 v10, 0x68, v153
	v_add3_u32 v10, 0, v10, v159
	ds_write2_b64 v10, v[14:15], v[20:21] offset0:2 offset1:3
	ds_write2_b64 v10, v[22:23], v[24:25] offset0:4 offset1:5
	;; [unrolled: 1-line block ×5, first 2 shown]
	ds_write2_b64 v10, v[6:7], v[12:13] offset1:1
	ds_write_b64 v10, v[92:93] offset:96
.LBB0_16:
	s_or_b32 exec_lo, exec_lo, s33
	v_and_b32_e32 v2, 0xff, v152
	v_and_b32_e32 v3, 0xff, v153
	v_add_nc_u32_e32 v156, 0x4e, v152
	v_add_nc_u32_e32 v154, 0x75, v152
	v_mov_b32_e32 v39, 6
	v_mul_lo_u16 v2, 0x4f, v2
	v_add_nc_u32_e32 v155, 0x9c, v152
	s_waitcnt lgkmcnt(0)
	v_and_b32_e32 v164, 0xff, v154
	s_barrier
	v_lshrrev_b16 v38, 10, v2
	v_mul_lo_u16 v2, 0x4f, v3
	v_and_b32_e32 v3, 0xff, v156
	v_mul_lo_u16 v10, 0x4f, v164
	v_and_b32_e32 v165, 0xff, v155
	v_mul_lo_u16 v4, v38, 13
	v_lshrrev_b16 v94, 10, v2
	v_mul_lo_u16 v2, 0x4f, v3
	v_lshrrev_b16 v116, 10, v10
	buffer_gl0_inv
	v_sub_nc_u16 v95, v152, v4
	v_mul_lo_u16 v3, v94, 13
	v_lshrrev_b16 v102, 10, v2
	v_mul_lo_u16 v34, v116, 13
	v_mul_lo_u16 v52, 0x4f, v165
	v_lshlrev_b32_sdwa v18, v39, v95 dst_sel:DWORD dst_unused:UNUSED_PAD src0_sel:DWORD src1_sel:BYTE_0
	v_sub_nc_u16 v103, v153, v3
	v_mul_lo_u16 v14, v102, 13
	v_sub_nc_u16 v119, v154, v34
	v_lshrrev_b16 v120, 10, v52
	s_clause 0x1
	global_load_dwordx4 v[2:5], v18, s[8:9] offset:16
	global_load_dwordx4 v[6:9], v18, s[8:9]
	v_lshlrev_b32_sdwa v30, v39, v103 dst_sel:DWORD dst_unused:UNUSED_PAD src0_sel:DWORD src1_sel:BYTE_0
	global_load_dwordx4 v[10:13], v18, s[8:9] offset:32
	v_sub_nc_u16 v117, v156, v14
	v_lshlrev_b32_sdwa v52, v39, v119 dst_sel:DWORD dst_unused:UNUSED_PAD src0_sel:DWORD src1_sel:BYTE_0
	s_clause 0x2
	global_load_dwordx4 v[14:17], v30, s[8:9]
	global_load_dwordx4 v[18:21], v18, s[8:9] offset:48
	global_load_dwordx4 v[22:25], v30, s[8:9] offset:16
	v_lshlrev_b32_sdwa v53, v39, v117 dst_sel:DWORD dst_unused:UNUSED_PAD src0_sel:DWORD src1_sel:BYTE_0
	s_clause 0x1
	global_load_dwordx4 v[26:29], v30, s[8:9] offset:32
	global_load_dwordx4 v[30:33], v30, s[8:9] offset:48
	v_and_b32_e32 v38, 0xffff, v38
	v_mov_b32_e32 v247, 3
	s_mov_b32 s10, 0x134454ff
	s_clause 0x4
	global_load_dwordx4 v[34:37], v53, s[8:9]
	global_load_dwordx4 v[112:115], v53, s[8:9] offset:16
	global_load_dwordx4 v[122:125], v53, s[8:9] offset:32
	;; [unrolled: 1-line block ×3, first 2 shown]
	global_load_dwordx4 v[172:175], v52, s[8:9]
	v_mul_lo_u16 v53, v120, 13
	s_clause 0x1
	global_load_dwordx4 v[176:179], v52, s[8:9] offset:16
	global_load_dwordx4 v[180:183], v52, s[8:9] offset:32
	v_mad_u32_u24 v38, 0x208, v38, 0
	v_lshlrev_b32_sdwa v95, v247, v95 dst_sel:DWORD dst_unused:UNUSED_PAD src0_sel:DWORD src1_sel:BYTE_0
	v_lshlrev_b32_sdwa v103, v247, v103 dst_sel:DWORD dst_unused:UNUSED_PAD src0_sel:DWORD src1_sel:BYTE_0
	v_sub_nc_u16 v246, v155, v53
	v_lshlrev_b32_sdwa v251, v247, v117 dst_sel:DWORD dst_unused:UNUSED_PAD src0_sel:DWORD src1_sel:BYTE_0
	v_lshlrev_b32_sdwa v252, v247, v119 dst_sel:DWORD dst_unused:UNUSED_PAD src0_sel:DWORD src1_sel:BYTE_0
	v_add3_u32 v167, v38, v95, v159
	s_mov_b32 s11, 0x3fee6f0e
	v_lshlrev_b32_sdwa v39, v39, v246 dst_sel:DWORD dst_unused:UNUSED_PAD src0_sel:DWORD src1_sel:BYTE_0
	s_clause 0x4
	global_load_dwordx4 v[184:187], v52, s[8:9] offset:48
	global_load_dwordx4 v[188:191], v39, s[8:9]
	global_load_dwordx4 v[192:195], v39, s[8:9] offset:16
	global_load_dwordx4 v[196:199], v39, s[8:9] offset:32
	;; [unrolled: 1-line block ×3, first 2 shown]
	ds_read_b64 v[100:101], v157
	ds_read2_b64 v[108:111], v158 offset0:195 offset1:234
	ds_read2_b64 v[204:207], v160 offset0:95 offset1:134
	;; [unrolled: 1-line block ×12, first 2 shown]
	v_and_b32_e32 v39, 0xffff, v94
	v_and_b32_e32 v94, 0xffff, v102
	;; [unrolled: 1-line block ×4, first 2 shown]
	s_mov_b32 s17, 0xbfee6f0e
	v_mad_u32_u24 v39, 0x208, v39, 0
	v_mad_u32_u24 v248, 0x208, v94, 0
	;; [unrolled: 1-line block ×4, first 2 shown]
	s_mov_b32 s16, s10
	v_add3_u32 v166, v39, v103, v159
	s_mov_b32 s6, 0x4755a5e
	s_mov_b32 s7, 0x3fe2cf23
	;; [unrolled: 1-line block ×6, first 2 shown]
	s_waitcnt vmcnt(0) lgkmcnt(0)
	s_barrier
	buffer_gl0_inv
	v_cmp_gt_u32_e64 s0, 13, v152
	v_mul_f64 v[94:95], v[206:207], v[4:5]
	v_mul_f64 v[38:39], v[108:109], v[8:9]
	;; [unrolled: 1-line block ×22, first 2 shown]
	v_fma_f64 v[146:147], v[50:51], v[2:3], -v[94:95]
	v_fma_f64 v[142:143], v[96:97], v[6:7], -v[38:39]
	v_mul_f64 v[38:39], v[228:229], v[178:179]
	v_fma_f64 v[136:137], v[108:109], v[6:7], v[8:9]
	v_mul_f64 v[6:7], v[222:223], v[174:175]
	v_fma_f64 v[148:149], v[76:77], v[10:11], -v[102:103]
	v_fma_f64 v[128:129], v[98:99], v[14:15], -v[116:117]
	v_fma_f64 v[124:125], v[110:111], v[14:15], v[16:17]
	v_mul_f64 v[14:15], v[226:227], v[182:183]
	v_mul_f64 v[98:99], v[232:233], v[186:187]
	v_fma_f64 v[102:103], v[130:131], v[10:11], v[12:13]
	v_mul_f64 v[10:11], v[230:231], v[194:195]
	v_fma_f64 v[150:151], v[58:59], v[18:19], -v[118:119]
	v_fma_f64 v[76:77], v[210:211], v[18:19], v[20:21]
	v_mul_f64 v[18:19], v[208:209], v[198:199]
	v_fma_f64 v[110:111], v[206:207], v[2:3], v[4:5]
	v_mul_f64 v[2:3], v[204:205], v[190:191]
	v_fma_f64 v[138:139], v[80:81], v[22:23], -v[120:121]
	v_fma_f64 v[108:109], v[212:213], v[22:23], v[24:25]
	v_mul_f64 v[22:23], v[234:235], v[202:203]
	v_mul_f64 v[4:5], v[48:49], v[190:191]
	;; [unrolled: 1-line block ×5, first 2 shown]
	v_fma_f64 v[140:141], v[78:79], v[26:27], -v[126:127]
	v_fma_f64 v[144:145], v[88:89], v[30:31], -v[134:135]
	v_mul_f64 v[36:37], v[84:85], v[36:37]
	v_mul_f64 v[170:171], v[90:91], v[170:171]
	v_fma_f64 v[78:79], v[132:133], v[26:27], v[28:29]
	v_fma_f64 v[130:131], v[84:85], v[34:35], -v[236:237]
	v_fma_f64 v[126:127], v[82:83], v[112:113], -v[238:239]
	;; [unrolled: 1-line block ×4, first 2 shown]
	v_mul_f64 v[8:9], v[86:87], v[174:175]
	v_mul_f64 v[174:175], v[64:65], v[186:187]
	v_fma_f64 v[116:117], v[68:69], v[176:177], -v[38:39]
	v_fma_f64 v[118:119], v[74:75], v[180:181], -v[14:15]
	v_mul_f64 v[96:97], v[68:69], v[178:179]
	v_fma_f64 v[82:83], v[214:215], v[112:113], v[114:115]
	v_fma_f64 v[72:73], v[224:225], v[122:123], v[242:243]
	v_fma_f64 v[114:115], v[86:87], v[172:173], -v[6:7]
	v_fma_f64 v[122:123], v[64:65], v[184:185], -v[98:99]
	v_mul_f64 v[24:25], v[66:67], v[202:203]
	v_fma_f64 v[86:87], v[70:71], v[192:193], -v[10:11]
	v_fma_f64 v[90:91], v[56:57], v[196:197], -v[18:19]
	;; [unrolled: 1-line block ×4, first 2 shown]
	v_fma_f64 v[74:75], v[204:205], v[188:189], v[4:5]
	v_add_f64 v[4:5], v[146:147], v[148:149]
	v_add_f64 v[14:15], v[142:143], v[150:151]
	v_fma_f64 v[50:51], v[216:217], v[30:31], v[32:33]
	v_fma_f64 v[68:69], v[226:227], v[180:181], v[16:17]
	;; [unrolled: 1-line block ×4, first 2 shown]
	v_add_f64 v[10:11], v[142:143], -v[146:147]
	v_add_f64 v[12:13], v[150:151], -v[148:149]
	;; [unrolled: 1-line block ×4, first 2 shown]
	v_add_f64 v[20:21], v[40:41], v[128:129]
	v_add_f64 v[22:23], v[138:139], v[140:141]
	;; [unrolled: 1-line block ×3, first 2 shown]
	v_fma_f64 v[120:121], v[220:221], v[34:35], v[36:37]
	v_fma_f64 v[58:59], v[218:219], v[168:169], v[170:171]
	v_add_f64 v[28:29], v[128:129], -v[138:139]
	v_add_f64 v[30:31], v[144:145], -v[140:141]
	v_add_f64 v[38:39], v[42:43], v[130:131]
	v_add_f64 v[88:89], v[126:127], v[132:133]
	v_add_f64 v[34:35], v[138:139], -v[128:129]
	v_add_f64 v[36:37], v[140:141], -v[144:145]
	v_add_f64 v[170:171], v[130:131], v[134:135]
	v_fma_f64 v[112:113], v[222:223], v[172:173], v[8:9]
	v_fma_f64 v[64:65], v[232:233], v[184:185], v[174:175]
	v_add_f64 v[178:179], v[116:117], v[118:119]
	v_fma_f64 v[80:81], v[228:229], v[176:177], v[96:97]
	v_add_f64 v[188:189], v[114:115], v[122:123]
	v_fma_f64 v[48:49], v[234:235], v[200:201], v[24:25]
	v_add_f64 v[98:99], v[130:131], -v[126:127]
	v_add_f64 v[168:169], v[134:135], -v[132:133]
	v_add_f64 v[196:197], v[86:87], v[90:91]
	v_add_f64 v[206:207], v[84:85], v[66:67]
	;; [unrolled: 1-line block ×3, first 2 shown]
	v_add_f64 v[6:7], v[136:137], -v[76:77]
	v_add_f64 v[172:173], v[126:127], -v[130:131]
	;; [unrolled: 1-line block ×3, first 2 shown]
	v_fma_f64 v[4:5], v[4:5], -0.5, v[0:1]
	v_add_f64 v[8:9], v[110:111], -v[102:103]
	v_add_f64 v[176:177], v[44:45], v[114:115]
	v_fma_f64 v[0:1], v[14:15], -0.5, v[0:1]
	v_add_f64 v[24:25], v[124:125], -v[50:51]
	v_add_f64 v[10:11], v[10:11], v[12:13]
	v_add_f64 v[12:13], v[16:17], v[18:19]
	;; [unrolled: 1-line block ×3, first 2 shown]
	v_fma_f64 v[16:17], v[22:23], -0.5, v[40:41]
	v_add_f64 v[26:27], v[108:109], -v[78:79]
	v_add_f64 v[184:185], v[114:115], -v[116:117]
	v_add_f64 v[186:187], v[122:123], -v[118:119]
	v_fma_f64 v[20:21], v[32:33], -0.5, v[40:41]
	v_add_f64 v[94:95], v[120:121], -v[58:59]
	v_add_f64 v[18:19], v[28:29], v[30:31]
	v_add_f64 v[28:29], v[38:39], v[126:127]
	v_fma_f64 v[30:31], v[88:89], -0.5, v[42:43]
	v_add_f64 v[96:97], v[82:83], -v[72:73]
	v_add_f64 v[22:23], v[34:35], v[36:37]
	v_fma_f64 v[34:35], v[170:171], -0.5, v[42:43]
	v_add_f64 v[180:181], v[112:113], -v[64:65]
	v_add_f64 v[190:191], v[116:117], -v[114:115]
	;; [unrolled: 1-line block ×3, first 2 shown]
	v_fma_f64 v[40:41], v[178:179], -0.5, v[44:45]
	v_add_f64 v[182:183], v[80:81], -v[68:69]
	v_fma_f64 v[44:45], v[188:189], -0.5, v[44:45]
	v_add_f64 v[194:195], v[46:47], v[84:85]
	v_add_f64 v[198:199], v[74:75], -v[48:49]
	v_add_f64 v[32:33], v[98:99], v[168:169]
	v_fma_f64 v[168:169], v[196:197], -0.5, v[46:47]
	v_add_f64 v[200:201], v[70:71], -v[56:57]
	v_fma_f64 v[46:47], v[206:207], -0.5, v[46:47]
	v_add_f64 v[2:3], v[2:3], v[146:147]
	v_add_f64 v[36:37], v[172:173], v[174:175]
	v_fma_f64 v[174:175], v[6:7], s[10:11], v[4:5]
	v_add_f64 v[38:39], v[176:177], v[116:117]
	v_fma_f64 v[4:5], v[6:7], s[16:17], v[4:5]
	v_fma_f64 v[176:177], v[8:9], s[16:17], v[0:1]
	;; [unrolled: 1-line block ×3, first 2 shown]
	v_add_f64 v[14:15], v[14:15], v[140:141]
	v_fma_f64 v[178:179], v[24:25], s[10:11], v[16:17]
	v_add_f64 v[42:43], v[184:185], v[186:187]
	v_fma_f64 v[16:17], v[24:25], s[16:17], v[16:17]
	v_fma_f64 v[184:185], v[26:27], s[16:17], v[20:21]
	;; [unrolled: 1-line block ×3, first 2 shown]
	v_add_f64 v[28:29], v[28:29], v[132:133]
	v_fma_f64 v[186:187], v[94:95], s[10:11], v[30:31]
	v_fma_f64 v[30:31], v[94:95], s[16:17], v[30:31]
	;; [unrolled: 1-line block ×4, first 2 shown]
	v_add_f64 v[88:89], v[190:191], v[192:193]
	v_fma_f64 v[190:191], v[180:181], s[10:11], v[40:41]
	v_fma_f64 v[192:193], v[182:183], s[16:17], v[44:45]
	;; [unrolled: 1-line block ×4, first 2 shown]
	v_add_f64 v[202:203], v[84:85], -v[86:87]
	v_add_f64 v[204:205], v[66:67], -v[90:91]
	v_add_f64 v[98:99], v[194:195], v[86:87]
	v_fma_f64 v[194:195], v[198:199], s[10:11], v[168:169]
	v_add_f64 v[208:209], v[86:87], -v[84:85]
	v_add_f64 v[210:211], v[90:91], -v[66:67]
	v_fma_f64 v[196:197], v[200:201], s[16:17], v[46:47]
	v_fma_f64 v[46:47], v[200:201], s[10:11], v[46:47]
	v_fma_f64 v[168:169], v[198:199], s[16:17], v[168:169]
	v_add_f64 v[2:3], v[2:3], v[148:149]
	v_fma_f64 v[174:175], v[8:9], s[6:7], v[174:175]
	v_fma_f64 v[4:5], v[8:9], s[14:15], v[4:5]
	v_fma_f64 v[8:9], v[6:7], s[6:7], v[176:177]
	v_fma_f64 v[0:1], v[6:7], s[14:15], v[0:1]
	v_add_f64 v[6:7], v[14:15], v[144:145]
	v_fma_f64 v[14:15], v[26:27], s[6:7], v[178:179]
	;; [unrolled: 5-line block ×4, first 2 shown]
	v_fma_f64 v[176:177], v[180:181], s[6:7], v[192:193]
	v_fma_f64 v[44:45], v[180:181], s[14:15], v[44:45]
	;; [unrolled: 1-line block ×3, first 2 shown]
	v_add_f64 v[170:171], v[202:203], v[204:205]
	v_add_f64 v[98:99], v[98:99], v[90:91]
	v_fma_f64 v[178:179], v[200:201], s[6:7], v[194:195]
	v_add_f64 v[172:173], v[208:209], v[210:211]
	v_fma_f64 v[180:181], v[198:199], s[6:7], v[196:197]
	v_fma_f64 v[46:47], v[198:199], s[14:15], v[46:47]
	;; [unrolled: 1-line block ×3, first 2 shown]
	v_add_f64 v[2:3], v[2:3], v[150:151]
	v_fma_f64 v[174:175], v[10:11], s[4:5], v[174:175]
	v_fma_f64 v[8:9], v[12:13], s[4:5], v[8:9]
	;; [unrolled: 1-line block ×12, first 2 shown]
	v_add_f64 v[38:39], v[38:39], v[122:123]
	v_fma_f64 v[28:29], v[42:43], s[4:5], v[94:95]
	v_fma_f64 v[32:33], v[88:89], s[4:5], v[176:177]
	;; [unrolled: 1-line block ×4, first 2 shown]
	v_add_f64 v[98:99], v[98:99], v[66:67]
	v_fma_f64 v[36:37], v[170:171], s[4:5], v[178:179]
	v_fma_f64 v[40:41], v[172:173], s[4:5], v[180:181]
	;; [unrolled: 1-line block ×4, first 2 shown]
	v_lshlrev_b32_sdwa v44, v247, v246 dst_sel:DWORD dst_unused:UNUSED_PAD src0_sel:DWORD src1_sel:BYTE_0
	v_add3_u32 v46, v248, v251, v159
	v_add3_u32 v45, v249, v252, v159
                                        ; implicit-def: $vgpr96_vgpr97
	v_add3_u32 v44, v250, v44, v159
	ds_write2_b64 v167, v[2:3], v[174:175] offset1:13
	ds_write2_b64 v167, v[8:9], v[0:1] offset0:26 offset1:39
	ds_write_b64 v167, v[4:5] offset:416
	ds_write2_b64 v166, v[6:7], v[10:11] offset1:13
	ds_write2_b64 v166, v[14:15], v[16:17] offset0:26 offset1:39
	ds_write_b64 v166, v[12:13] offset:416
	;; [unrolled: 3-line block ×5, first 2 shown]
	s_waitcnt lgkmcnt(0)
	s_barrier
	buffer_gl0_inv
	ds_read2_b64 v[0:3], v160 offset0:17 offset1:69
	ds_read2_b64 v[16:19], v161 offset0:86 offset1:138
	;; [unrolled: 1-line block ×11, first 2 shown]
	ds_read_b64 v[94:95], v157
	ds_read_b64 v[98:99], v158 offset:7384
	s_and_saveexec_b32 s1, s0
	s_cbranch_execz .LBB0_18
; %bb.17:
	ds_read_b64 v[88:89], v158 offset:2496
	ds_read_b64 v[106:107], v158 offset:5096
	;; [unrolled: 1-line block ×3, first 2 shown]
.LBB0_18:
	s_or_b32 exec_lo, exec_lo, s1
	v_add_f64 v[160:161], v[110:111], v[102:103]
	v_add_f64 v[162:163], v[100:101], v[136:137]
	v_add_f64 v[142:143], v[142:143], -v[150:151]
	v_add_f64 v[168:169], v[136:137], v[76:77]
	v_add_f64 v[174:175], v[108:109], v[78:79]
	;; [unrolled: 1-line block ×3, first 2 shown]
	v_add_f64 v[130:131], v[130:131], -v[134:135]
	v_add_f64 v[146:147], v[146:147], -v[148:149]
	;; [unrolled: 1-line block ×4, first 2 shown]
	v_add_f64 v[172:173], v[60:61], v[124:125]
	v_add_f64 v[182:183], v[82:83], v[72:73]
	;; [unrolled: 1-line block ×3, first 2 shown]
	v_add_f64 v[128:129], v[128:129], -v[144:145]
	v_add_f64 v[138:139], v[138:139], -v[140:141]
	;; [unrolled: 1-line block ×4, first 2 shown]
	v_add_f64 v[190:191], v[80:81], v[68:69]
	v_add_f64 v[192:193], v[112:113], v[64:65]
	v_add_f64 v[136:137], v[110:111], -v[136:137]
	v_add_f64 v[170:171], v[102:103], -v[76:77]
	v_add_f64 v[194:195], v[70:71], v[56:57]
	v_fma_f64 v[134:135], v[160:161], -0.5, v[100:101]
	v_add_f64 v[110:111], v[162:163], v[110:111]
	v_add_f64 v[66:67], v[84:85], -v[66:67]
	v_fma_f64 v[100:101], v[168:169], -0.5, v[100:101]
	v_fma_f64 v[168:169], v[174:175], -0.5, v[60:61]
	;; [unrolled: 1-line block ×3, first 2 shown]
	v_add_f64 v[84:85], v[86:87], -v[90:91]
	v_add_f64 v[86:87], v[74:75], v[48:49]
	v_add_f64 v[124:125], v[108:109], -v[124:125]
	v_add_f64 v[180:181], v[62:63], v[120:121]
	v_add_f64 v[90:91], v[172:173], v[108:109]
	;; [unrolled: 1-line block ×3, first 2 shown]
	v_fma_f64 v[148:149], v[182:183], -0.5, v[62:63]
	v_add_f64 v[126:127], v[126:127], -v[132:133]
	v_fma_f64 v[62:63], v[184:185], -0.5, v[62:63]
	v_add_f64 v[188:189], v[52:53], v[112:113]
	v_add_f64 v[114:115], v[114:115], -v[122:123]
	v_add_f64 v[174:175], v[54:55], v[74:75]
	v_add_f64 v[140:141], v[140:141], v[144:145]
	v_fma_f64 v[144:145], v[190:191], -0.5, v[52:53]
	v_add_f64 v[178:179], v[78:79], -v[50:51]
	v_add_f64 v[116:117], v[116:117], -v[118:119]
	v_fma_f64 v[176:177], v[142:143], s[16:17], v[134:135]
	v_fma_f64 v[134:135], v[142:143], s[10:11], v[134:135]
	v_fma_f64 v[52:53], v[192:193], -0.5, v[52:53]
	v_add_f64 v[136:137], v[136:137], v[170:171]
	v_fma_f64 v[150:151], v[194:195], -0.5, v[54:55]
	v_add_f64 v[102:103], v[110:111], v[102:103]
	v_fma_f64 v[110:111], v[146:147], s[10:11], v[100:101]
	v_fma_f64 v[170:171], v[128:129], s[16:17], v[168:169]
	;; [unrolled: 1-line block ×5, first 2 shown]
	v_fma_f64 v[54:55], v[86:87], -0.5, v[54:55]
	v_fma_f64 v[60:61], v[138:139], s[16:17], v[60:61]
	v_add_f64 v[132:133], v[120:121], -v[82:83]
	v_add_f64 v[160:161], v[58:59], -v[72:73]
	v_add_f64 v[120:121], v[82:83], -v[120:121]
	v_add_f64 v[82:83], v[180:181], v[82:83]
	v_fma_f64 v[86:87], v[130:131], s[16:17], v[148:149]
	v_add_f64 v[186:187], v[72:73], -v[58:59]
	v_add_f64 v[78:79], v[90:91], v[78:79]
	v_fma_f64 v[90:91], v[130:131], s[10:11], v[148:149]
	v_fma_f64 v[148:149], v[126:127], s[10:11], v[62:63]
	;; [unrolled: 1-line block ×5, first 2 shown]
	v_add_f64 v[118:119], v[112:113], -v[80:81]
	v_add_f64 v[122:123], v[64:65], -v[68:69]
	;; [unrolled: 1-line block ×3, first 2 shown]
	v_add_f64 v[80:81], v[188:189], v[80:81]
	v_add_f64 v[146:147], v[174:175], v[70:71]
	v_fma_f64 v[174:175], v[114:115], s[16:17], v[144:145]
	v_add_f64 v[162:163], v[68:69], -v[64:65]
	v_add_f64 v[124:125], v[124:125], v[178:179]
	v_fma_f64 v[178:179], v[116:117], s[10:11], v[52:53]
	v_fma_f64 v[52:53], v[116:117], s[16:17], v[52:53]
	;; [unrolled: 1-line block ×4, first 2 shown]
	v_add_f64 v[76:77], v[102:103], v[76:77]
	v_fma_f64 v[102:103], v[142:143], s[14:15], v[110:111]
	v_fma_f64 v[110:111], v[138:139], s[14:15], v[170:171]
	;; [unrolled: 1-line block ×3, first 2 shown]
	v_add_f64 v[170:171], v[48:49], -v[56:57]
	v_fma_f64 v[100:101], v[142:143], s[6:7], v[100:101]
	v_fma_f64 v[142:143], v[128:129], s[14:15], v[172:173]
	;; [unrolled: 1-line block ×4, first 2 shown]
	v_add_f64 v[134:135], v[74:75], -v[70:71]
	v_fma_f64 v[172:173], v[84:85], s[10:11], v[54:55]
	v_add_f64 v[70:71], v[70:71], -v[74:75]
	v_add_f64 v[74:75], v[56:57], -v[48:49]
	v_fma_f64 v[54:55], v[84:85], s[16:17], v[54:55]
	v_fma_f64 v[150:151], v[66:67], s[10:11], v[150:151]
	;; [unrolled: 1-line block ×3, first 2 shown]
	v_add_f64 v[72:73], v[82:83], v[72:73]
	v_fma_f64 v[82:83], v[126:127], s[14:15], v[86:87]
	v_add_f64 v[86:87], v[132:133], v[160:161]
	v_fma_f64 v[90:91], v[126:127], s[6:7], v[90:91]
	v_fma_f64 v[126:127], v[130:131], s[14:15], v[148:149]
	v_add_f64 v[120:121], v[120:121], v[186:187]
	v_fma_f64 v[62:63], v[130:131], s[6:7], v[62:63]
	v_add_f64 v[68:69], v[80:81], v[68:69]
	;; [unrolled: 2-line block ×4, first 2 shown]
	v_fma_f64 v[52:53], v[114:115], s[6:7], v[52:53]
	v_fma_f64 v[116:117], v[116:117], s[6:7], v[144:145]
	v_add_f64 v[56:57], v[146:147], v[56:57]
	v_fma_f64 v[114:115], v[84:85], s[14:15], v[180:181]
	v_add_f64 v[128:129], v[134:135], v[170:171]
	;; [unrolled: 2-line block ×3, first 2 shown]
	v_fma_f64 v[54:55], v[66:67], s[6:7], v[54:55]
	v_fma_f64 v[66:67], v[84:85], s[6:7], v[150:151]
	v_fma_f64 v[74:75], v[136:137], s[4:5], v[102:103]
	v_fma_f64 v[84:85], v[136:137], s[4:5], v[100:101]
	v_add_f64 v[50:51], v[78:79], v[50:51]
	v_fma_f64 v[78:79], v[140:141], s[4:5], v[110:111]
	v_fma_f64 v[102:103], v[124:125], s[4:5], v[142:143]
	v_fma_f64 v[60:61], v[124:125], s[4:5], v[60:61]
	v_fma_f64 v[100:101], v[140:141], s[4:5], v[138:139]
	v_add_f64 v[58:59], v[72:73], v[58:59]
	;; [unrolled: 5-line block ×4, first 2 shown]
	v_fma_f64 v[56:57], v[128:129], s[4:5], v[114:115]
	v_fma_f64 v[112:113], v[70:71], s[4:5], v[130:131]
	;; [unrolled: 1-line block ×4, first 2 shown]
	s_waitcnt lgkmcnt(0)
	s_barrier
	buffer_gl0_inv
	ds_write2_b64 v167, v[76:77], v[168:169] offset1:13
	ds_write2_b64 v167, v[74:75], v[84:85] offset0:26 offset1:39
	ds_write_b64 v167, v[108:109] offset:416
	ds_write2_b64 v166, v[50:51], v[78:79] offset1:13
	ds_write2_b64 v166, v[102:103], v[60:61] offset0:26 offset1:39
	ds_write_b64 v166, v[100:101] offset:416
	;; [unrolled: 3-line block ×5, first 2 shown]
	v_add_nc_u32_e32 v56, 0x800, v158
	v_add_nc_u32_e32 v68, 0x1000, v158
	;; [unrolled: 1-line block ×4, first 2 shown]
	s_waitcnt lgkmcnt(0)
	s_barrier
	buffer_gl0_inv
	ds_read2_b64 v[44:47], v56 offset0:17 offset1:69
	ds_read2_b64 v[60:63], v68 offset0:86 offset1:138
	;; [unrolled: 1-line block ×11, first 2 shown]
	ds_read_b64 v[100:101], v157
	ds_read_b64 v[108:109], v158 offset:7384
                                        ; implicit-def: $vgpr102_vgpr103
	s_and_saveexec_b32 s1, s0
	s_cbranch_execz .LBB0_20
; %bb.19:
	ds_read_b64 v[90:91], v158 offset:2496
	ds_read_b64 v[92:93], v158 offset:5096
	ds_read_b64 v[102:103], v158 offset:7696
.LBB0_20:
	s_or_b32 exec_lo, exec_lo, s1
	v_lshlrev_b32_e32 v110, 1, v152
	v_mov_b32_e32 v111, 0
	v_subrev_nc_u32_e32 v114, 26, v152
	v_cmp_gt_u32_e64 s1, 26, v152
	v_mul_lo_u16 v116, 0xfd, v164
	v_add_nc_u32_e32 v124, 0xea, v152
	v_lshlrev_b64 v[112:113], 4, v[110:111]
	v_add_nc_u32_e32 v110, 26, v110
	v_cndmask_b32_e64 v130, v114, v153, s1
	v_mov_b32_e32 v119, v111
	v_lshrrev_b16 v131, 14, v116
	v_mov_b32_e32 v134, 0xfc1
	v_lshlrev_b64 v[120:121], 4, v[110:111]
	v_add_co_u32 v114, s1, s8, v112
	v_lshlrev_b32_e32 v118, 1, v130
	v_add_co_ci_u32_e64 v115, s1, s9, v113, s1
	v_add_co_u32 v122, s1, s8, v120
	v_mul_lo_u16 v120, 0xfd, v165
	v_lshlrev_b64 v[118:119], 4, v[118:119]
	v_mul_lo_u16 v126, 0x41, v131
	v_add_co_ci_u32_e64 v123, s1, s9, v121, s1
	v_lshrrev_b16 v139, 14, v120
	v_add_nc_u32_e32 v125, 0xc3, v152
	v_sub_nc_u16 v132, v154, v126
	v_add_co_u32 v126, s1, s8, v118
	v_add_nc_u32_e32 v128, 0x111, v152
	s_clause 0x1
	global_load_dwordx4 v[110:113], v[114:115], off offset:848
	global_load_dwordx4 v[114:117], v[114:115], off offset:832
	v_add_co_ci_u32_e64 v127, s1, s9, v119, s1
	v_mul_u32_u24_sdwa v140, v124, v134 dst_sel:DWORD dst_unused:UNUSED_PAD src0_sel:WORD_0 src1_sel:DWORD
	s_clause 0x1
	global_load_dwordx4 v[118:121], v[122:123], off offset:848
	global_load_dwordx4 v[135:138], v[122:123], off offset:832
	v_mul_lo_u16 v122, 0x41, v139
	v_add_nc_u32_e32 v129, 0x138, v152
	v_mov_b32_e32 v133, 5
	v_lshrrev_b32_e32 v123, 18, v140
	v_mul_u32_u24_sdwa v147, v128, v134 dst_sel:DWORD dst_unused:UNUSED_PAD src0_sel:WORD_0 src1_sel:DWORD
	v_sub_nc_u16 v122, v155, v122
	v_and_b32_e32 v148, 0xff, v125
	v_mul_u32_u24_sdwa v134, v129, v134 dst_sel:DWORD dst_unused:UNUSED_PAD src0_sel:WORD_0 src1_sel:DWORD
	v_lshlrev_b32_sdwa v143, v133, v132 dst_sel:DWORD dst_unused:UNUSED_PAD src0_sel:DWORD src1_sel:BYTE_0
	v_mul_lo_u16 v149, 0x41, v123
	v_lshrrev_b32_e32 v147, 18, v147
	v_lshlrev_b32_sdwa v151, v133, v122 dst_sel:DWORD dst_unused:UNUSED_PAD src0_sel:DWORD src1_sel:BYTE_0
	v_mul_lo_u16 v164, 0xfd, v148
	v_lshrrev_b32_e32 v134, 18, v134
	s_clause 0x1
	global_load_dwordx4 v[139:142], v143, s[8:9] offset:848
	global_load_dwordx4 v[143:146], v143, s[8:9] offset:832
	v_sub_nc_u16 v204, v124, v149
	v_mul_lo_u16 v165, 0x41, v147
	s_clause 0x1
	global_load_dwordx4 v[147:150], v151, s[8:9] offset:848
	global_load_dwordx4 v[160:163], v151, s[8:9] offset:832
	v_lshrrev_b16 v151, 14, v164
	v_mul_lo_u16 v134, 0x41, v134
	v_lshlrev_b32_sdwa v176, v133, v204 dst_sel:DWORD dst_unused:UNUSED_PAD src0_sel:DWORD src1_sel:WORD_0
	v_sub_nc_u16 v128, v128, v165
	s_clause 0x1
	global_load_dwordx4 v[164:167], v[126:127], off offset:848
	global_load_dwordx4 v[168:171], v[126:127], off offset:832
	v_mul_lo_u16 v127, 0x41, v151
	v_sub_nc_u16 v126, v129, v134
	s_clause 0x1
	global_load_dwordx4 v[172:175], v176, s[8:9] offset:832
	global_load_dwordx4 v[176:179], v176, s[8:9] offset:848
	v_lshlrev_b32_sdwa v129, v133, v128 dst_sel:DWORD dst_unused:UNUSED_PAD src0_sel:DWORD src1_sel:WORD_0
	s_clause 0x1
	global_load_dwordx4 v[180:183], v129, s[8:9] offset:832
	global_load_dwordx4 v[184:187], v129, s[8:9] offset:848
	v_sub_nc_u16 v151, v125, v127
	v_lshlrev_b32_sdwa v127, v133, v126 dst_sel:DWORD dst_unused:UNUSED_PAD src0_sel:DWORD src1_sel:WORD_0
	v_cmp_lt_u32_e64 s1, 25, v152
	v_mov_b32_e32 v134, 3
	v_lshlrev_b32_e32 v130, 3, v130
	v_lshlrev_b32_sdwa v129, v133, v151 dst_sel:DWORD dst_unused:UNUSED_PAD src0_sel:DWORD src1_sel:BYTE_0
	s_clause 0x3
	global_load_dwordx4 v[188:191], v127, s[8:9] offset:832
	global_load_dwordx4 v[192:195], v127, s[8:9] offset:848
	;; [unrolled: 1-line block ×4, first 2 shown]
	v_cndmask_b32_e64 v129, 0, 0x618, s1
	v_and_b32_e32 v131, 0xffff, v131
	v_lshlrev_b32_sdwa v122, v134, v122 dst_sel:DWORD dst_unused:UNUSED_PAD src0_sel:DWORD src1_sel:BYTE_0
	v_mad_u32_u24 v123, 0x618, v123, 0
	v_lshlrev_b32_sdwa v132, v134, v132 dst_sel:DWORD dst_unused:UNUSED_PAD src0_sel:DWORD src1_sel:BYTE_0
	v_add_nc_u32_e32 v129, 0, v129
	v_mad_u32_u24 v131, 0x618, v131, 0
	s_mov_b32 s4, 0xe8584caa
	s_mov_b32 s5, 0x3febb67a
	;; [unrolled: 1-line block ×3, first 2 shown]
	v_add3_u32 v129, v129, v130, v159
	v_add3_u32 v130, 0, v122, v159
	v_lshlrev_b32_sdwa v122, v134, v204 dst_sel:DWORD dst_unused:UNUSED_PAD src0_sel:DWORD src1_sel:WORD_0
	v_add3_u32 v133, v131, v132, v159
	s_mov_b32 s6, s4
	v_lshlrev_b32_sdwa v128, v134, v128 dst_sel:DWORD dst_unused:UNUSED_PAD src0_sel:DWORD src1_sel:WORD_0
	v_lshlrev_b32_sdwa v151, v134, v151 dst_sel:DWORD dst_unused:UNUSED_PAD src0_sel:DWORD src1_sel:BYTE_0
	v_add3_u32 v131, v123, v122, v159
	v_add_nc_u32_e32 v127, 0x68, v158
	v_add_nc_u32_e32 v240, 0x400, v158
	v_add3_u32 v128, 0, v128, v159
	v_add3_u32 v132, 0, v151, v159
	v_add_nc_u32_e32 v241, 0x800, v130
	s_waitcnt vmcnt(0) lgkmcnt(0)
	s_barrier
	buffer_gl0_inv
	v_mul_f64 v[204:205], v[62:63], v[112:113]
	v_mul_f64 v[122:123], v[46:47], v[116:117]
	;; [unrolled: 1-line block ×18, first 2 shown]
	v_fma_f64 v[112:113], v[2:3], v[114:115], -v[122:123]
	v_mul_f64 v[224:225], v[74:75], v[174:175]
	v_mul_f64 v[226:227], v[70:71], v[178:179]
	v_fma_f64 v[122:123], v[46:47], v[114:115], v[116:117]
	v_fma_f64 v[116:117], v[18:19], v[110:111], -v[204:205]
	v_mul_f64 v[170:171], v[36:37], v[170:171]
	v_mul_f64 v[166:167], v[40:41], v[166:167]
	;; [unrolled: 1-line block ×4, first 2 shown]
	v_fma_f64 v[42:43], v[42:43], v[118:119], -v[210:211]
	v_fma_f64 v[18:19], v[78:79], v[118:119], v[120:121]
	v_fma_f64 v[38:39], v[38:39], v[135:136], -v[208:209]
	v_mul_f64 v[186:187], v[98:99], v[186:187]
	v_fma_f64 v[32:33], v[32:33], v[143:144], -v[212:213]
	v_mul_f64 v[232:233], v[92:93], v[190:191]
	v_mul_f64 v[190:191], v[106:107], v[190:191]
	;; [unrolled: 1-line block ×6, first 2 shown]
	v_fma_f64 v[118:119], v[40:41], v[164:165], -v[222:223]
	v_fma_f64 v[114:115], v[36:37], v[168:169], -v[220:221]
	;; [unrolled: 1-line block ×4, first 2 shown]
	v_fma_f64 v[120:121], v[86:87], v[160:161], v[162:163]
	v_fma_f64 v[86:87], v[30:31], v[147:148], -v[218:219]
	v_mul_f64 v[198:199], v[20:21], v[198:199]
	v_fma_f64 v[2:3], v[62:63], v[110:111], v[206:207]
	v_fma_f64 v[110:111], v[84:85], v[143:144], v[145:146]
	v_fma_f64 v[28:29], v[80:81], v[139:140], v[141:142]
	v_mul_f64 v[174:175], v[22:23], v[174:175]
	v_mul_f64 v[178:179], v[26:27], v[178:179]
	v_fma_f64 v[30:31], v[82:83], v[147:148], v[149:150]
	v_fma_f64 v[36:37], v[22:23], v[172:173], -v[224:225]
	v_fma_f64 v[82:83], v[26:27], v[176:177], -v[226:227]
	v_mul_f64 v[182:183], v[16:17], v[182:183]
	v_fma_f64 v[26:27], v[16:17], v[180:181], -v[228:229]
	v_fma_f64 v[34:35], v[98:99], v[184:185], -v[230:231]
	;; [unrolled: 1-line block ×4, first 2 shown]
	v_fma_f64 v[46:47], v[66:67], v[135:136], v[137:138]
	v_add_f64 v[66:67], v[112:113], v[116:117]
	v_fma_f64 v[98:99], v[64:65], v[168:169], v[170:171]
	v_fma_f64 v[24:25], v[76:77], v[164:165], v[166:167]
	v_add_f64 v[76:77], v[114:115], v[118:119]
	v_fma_f64 v[62:63], v[92:93], v[188:189], v[190:191]
	v_add_f64 v[92:93], v[38:39], v[42:43]
	v_mul_f64 v[194:195], v[96:97], v[194:195]
	v_fma_f64 v[64:65], v[96:97], v[192:193], -v[234:235]
	v_add_f64 v[96:97], v[32:33], v[40:41]
	v_fma_f64 v[22:23], v[68:69], v[200:201], v[202:203]
	v_add_f64 v[68:69], v[78:79], v[86:87]
	v_fma_f64 v[16:17], v[108:109], v[184:185], v[186:187]
	v_fma_f64 v[72:73], v[72:73], v[196:197], v[198:199]
	;; [unrolled: 1-line block ×4, first 2 shown]
	v_add_f64 v[137:138], v[36:37], v[82:83]
	v_fma_f64 v[70:71], v[60:61], v[180:181], v[182:183]
	v_fma_f64 v[60:61], v[106:107], v[188:189], -v[232:233]
	v_add_f64 v[141:142], v[26:27], v[34:35]
	v_add_f64 v[106:107], v[94:95], v[112:113]
	;; [unrolled: 1-line block ×3, first 2 shown]
	v_add_f64 v[135:136], v[122:123], -v[2:3]
	v_add_f64 v[139:140], v[14:15], v[38:39]
	v_add_f64 v[145:146], v[8:9], v[32:33]
	;; [unrolled: 1-line block ×4, first 2 shown]
	v_fma_f64 v[66:67], v[66:67], -0.5, v[94:95]
	v_add_f64 v[147:148], v[10:11], v[78:79]
	v_add_f64 v[160:161], v[6:7], v[36:37]
	;; [unrolled: 1-line block ×3, first 2 shown]
	v_add_f64 v[94:95], v[98:99], -v[24:25]
	v_fma_f64 v[12:13], v[76:77], -0.5, v[12:13]
	v_add_f64 v[143:144], v[46:47], -v[18:19]
	v_fma_f64 v[14:15], v[92:93], -0.5, v[14:15]
	;; [unrolled: 2-line block ×4, first 2 shown]
	v_add_f64 v[68:69], v[72:73], -v[22:23]
	v_add_f64 v[96:97], v[74:75], -v[20:21]
	v_fma_f64 v[6:7], v[137:138], -0.5, v[6:7]
	v_fma_f64 v[0:1], v[141:142], -0.5, v[0:1]
	;; [unrolled: 1-line block ×3, first 2 shown]
	v_add_f64 v[108:109], v[70:71], -v[16:17]
	v_add_f64 v[106:107], v[106:107], v[116:117]
	v_add_f64 v[137:138], v[139:140], v[42:43]
	;; [unrolled: 1-line block ×5, first 2 shown]
	v_fma_f64 v[162:163], v[135:136], s[4:5], v[66:67]
	v_fma_f64 v[135:136], v[135:136], s[6:7], v[66:67]
	;; [unrolled: 1-line block ×3, first 2 shown]
	v_add_f64 v[141:142], v[147:148], v[86:87]
	v_add_f64 v[147:148], v[160:161], v[82:83]
	;; [unrolled: 1-line block ×3, first 2 shown]
	v_fma_f64 v[164:165], v[94:95], s[4:5], v[12:13]
	v_fma_f64 v[12:13], v[94:95], s[6:7], v[12:13]
	;; [unrolled: 1-line block ×8, first 2 shown]
	v_add_nc_u32_e32 v102, 0x1800, v128
	v_fma_f64 v[92:93], v[68:69], s[4:5], v[4:5]
	v_fma_f64 v[4:5], v[68:69], s[6:7], v[4:5]
	;; [unrolled: 1-line block ×6, first 2 shown]
	v_add_nc_u32_e32 v103, 0x1000, v132
	ds_write2_b64 v158, v[106:107], v[162:163] offset1:65
	ds_write_b64 v158, v[135:136] offset:1040
	ds_write2_b64 v129, v[145:146], v[164:165] offset1:65
	ds_write_b64 v129, v[12:13] offset:1040
	ds_write2_b64 v240, v[137:138], v[94:95] offset0:80 offset1:145
	ds_write_b64 v158, v[14:15] offset:2704
	ds_write2_b64 v133, v[139:140], v[143:144] offset1:65
	ds_write_b64 v133, v[8:9] offset:1040
	ds_write2_b64 v241, v[141:142], v[76:77] offset0:134 offset1:199
	ds_write_b64 v130, v[10:11] offset:4160
	ds_write2_b64 v103, v[160:161], v[92:93] offset0:73 offset1:138
	ds_write_b64 v132, v[4:5] offset:5720
	ds_write2_b64 v131, v[147:148], v[68:69] offset1:65
	ds_write_b64 v131, v[6:7] offset:1040
	ds_write2_b64 v102, v[149:150], v[96:97] offset0:12 offset1:77
	ds_write_b64 v128, v[0:1] offset:7280
	s_and_saveexec_b32 s1, s0
	s_cbranch_execz .LBB0_22
; %bb.21:
	v_add_f64 v[0:1], v[60:61], v[64:65]
	v_add_f64 v[4:5], v[62:63], -v[66:67]
	v_add_f64 v[6:7], v[88:89], v[60:61]
	v_fma_f64 v[0:1], v[0:1], -0.5, v[88:89]
	v_add_f64 v[6:7], v[6:7], v[64:65]
	v_fma_f64 v[8:9], v[4:5], s[4:5], v[0:1]
	v_fma_f64 v[0:1], v[4:5], s[6:7], v[0:1]
	v_lshlrev_b32_sdwa v4, v134, v126 dst_sel:DWORD dst_unused:UNUSED_PAD src0_sel:DWORD src1_sel:WORD_0
	v_add3_u32 v4, 0, v4, v159
	v_add_nc_u32_e32 v5, 0x1800, v4
	ds_write2_b64 v5, v[6:7], v[8:9] offset0:12 offset1:77
	ds_write_b64 v4, v[0:1] offset:7280
.LBB0_22:
	s_or_b32 exec_lo, exec_lo, s1
	v_add_f64 v[0:1], v[122:123], v[2:3]
	v_add_f64 v[4:5], v[98:99], v[24:25]
	;; [unrolled: 1-line block ×9, first 2 shown]
	v_add_f64 v[76:77], v[112:113], -v[116:117]
	v_add_f64 v[94:95], v[114:115], -v[118:119]
	v_add_f64 v[88:89], v[48:49], v[98:99]
	v_add_f64 v[96:97], v[52:53], v[110:111]
	v_add_f64 v[32:33], v[32:33], -v[40:41]
	v_add_f64 v[40:41], v[78:79], -v[86:87]
	v_add_f64 v[46:47], v[50:51], v[46:47]
	v_add_f64 v[98:99], v[54:55], v[120:121]
	v_add_f64 v[38:39], v[38:39], -v[42:43]
	v_add_f64 v[42:43], v[56:57], v[72:73]
	v_add_f64 v[36:37], v[36:37], -v[82:83]
	v_add_f64 v[26:27], v[26:27], -v[34:35]
	s_waitcnt lgkmcnt(0)
	v_fma_f64 v[0:1], v[0:1], -0.5, v[100:101]
	v_fma_f64 v[4:5], v[4:5], -0.5, v[48:49]
	;; [unrolled: 1-line block ×5, first 2 shown]
	v_add_f64 v[48:49], v[80:81], -v[84:85]
	v_add_f64 v[50:51], v[58:59], v[74:75]
	v_fma_f64 v[12:13], v[12:13], -0.5, v[56:57]
	v_add_f64 v[52:53], v[44:45], v[70:71]
	v_fma_f64 v[54:55], v[68:69], -0.5, v[58:59]
	;; [unrolled: 2-line block ×3, first 2 shown]
	v_add_nc_u32_e32 v44, 0x1800, v158
	v_add_f64 v[58:59], v[88:89], v[24:25]
	v_add_f64 v[70:71], v[96:97], v[28:29]
	;; [unrolled: 1-line block ×4, first 2 shown]
	s_barrier
	v_add_f64 v[98:99], v[42:43], v[22:23]
	buffer_gl0_inv
	ds_read_b64 v[80:81], v157
	v_add_nc_u32_e32 v110, 0x400, v127
	v_fma_f64 v[74:75], v[76:77], s[6:7], v[0:1]
	v_fma_f64 v[76:77], v[76:77], s[4:5], v[0:1]
	v_add_nc_u32_e32 v0, 0x1400, v158
	v_fma_f64 v[78:79], v[94:95], s[6:7], v[4:5]
	v_fma_f64 v[82:83], v[94:95], s[4:5], v[4:5]
	v_add_nc_u32_e32 v4, 0x800, v158
	v_add_nc_u32_e32 v5, 0x1000, v158
	v_fma_f64 v[94:95], v[40:41], s[6:7], v[10:11]
	v_fma_f64 v[96:97], v[40:41], s[4:5], v[10:11]
	v_add_nc_u32_e32 v40, 0xc00, v158
	v_fma_f64 v[84:85], v[38:39], s[6:7], v[6:7]
	v_fma_f64 v[86:87], v[38:39], s[4:5], v[6:7]
	;; [unrolled: 1-line block ×6, first 2 shown]
	v_add_f64 v[50:51], v[50:51], v[20:21]
	v_fma_f64 v[102:103], v[36:37], s[6:7], v[54:55]
	v_fma_f64 v[54:55], v[36:37], s[4:5], v[54:55]
	v_add_f64 v[52:53], v[52:53], v[16:17]
	v_fma_f64 v[106:107], v[26:27], s[6:7], v[2:3]
	v_fma_f64 v[108:109], v[26:27], s[4:5], v[2:3]
	ds_read2_b64 v[16:19], v158 offset0:195 offset1:234
	ds_read2_b64 v[8:11], v4 offset0:95 offset1:134
	ds_read2_b64 v[12:15], v5 offset0:73 offset1:112
	ds_read2_b64 v[20:23], v0 offset0:101 offset1:140
	ds_read2_b64 v[0:3], v158 offset0:39 offset1:78
	ds_read2_b64 v[24:27], v4 offset0:173 offset1:212
	ds_read2_b64 v[28:31], v44 offset0:51 offset1:90
	ds_read2_b64 v[36:39], v4 offset0:17 offset1:56
	ds_read2_b64 v[32:35], v5 offset0:151 offset1:190
	ds_read2_b64 v[4:7], v158 offset0:117 offset1:156
	ds_read2_b64 v[40:43], v40 offset0:123 offset1:162
	ds_read2_b64 v[44:47], v44 offset0:129 offset1:168
	s_waitcnt lgkmcnt(0)
	s_barrier
	buffer_gl0_inv
	ds_write2_b64 v158, v[56:57], v[74:75] offset1:65
	ds_write_b64 v158, v[76:77] offset:1040
	ds_write2_b64 v129, v[58:59], v[78:79] offset1:65
	ds_write_b64 v129, v[82:83] offset:1040
	ds_write2_b64 v110, v[68:69], v[84:85] offset0:67 offset1:132
	v_add_nc_u32_e32 v56, 0x800, v130
	v_add_nc_u32_e32 v57, 0x1000, v132
	ds_write_b64 v127, v[86:87] offset:2600
	ds_write2_b64 v133, v[70:71], v[88:89] offset1:65
	ds_write_b64 v133, v[92:93] offset:1040
	ds_write2_b64 v56, v[72:73], v[94:95] offset0:134 offset1:199
	ds_write_b64 v130, v[96:97] offset:4160
	v_add_nc_u32_e32 v56, 0x1800, v128
	ds_write2_b64 v57, v[98:99], v[100:101] offset0:73 offset1:138
	ds_write_b64 v132, v[48:49] offset:5720
	ds_write2_b64 v131, v[50:51], v[102:103] offset1:65
	ds_write_b64 v131, v[54:55] offset:1040
	ds_write2_b64 v56, v[52:53], v[106:107] offset0:12 offset1:77
	ds_write_b64 v128, v[108:109] offset:7280
	s_and_saveexec_b32 s1, s0
	s_cbranch_execz .LBB0_24
; %bb.23:
	v_add_f64 v[48:49], v[62:63], v[66:67]
	v_add_f64 v[50:51], v[60:61], -v[64:65]
	v_add_f64 v[52:53], v[90:91], v[62:63]
	s_mov_b32 s5, 0xbfebb67a
	s_mov_b32 s4, 0xe8584caa
	v_fma_f64 v[48:49], v[48:49], -0.5, v[90:91]
	v_add_f64 v[52:53], v[52:53], v[66:67]
	v_fma_f64 v[54:55], v[50:51], s[4:5], v[48:49]
	s_mov_b32 s5, 0x3febb67a
	v_fma_f64 v[48:49], v[50:51], s[4:5], v[48:49]
	v_mov_b32_e32 v50, 3
	v_lshlrev_b32_sdwa v50, v50, v126 dst_sel:DWORD dst_unused:UNUSED_PAD src0_sel:DWORD src1_sel:WORD_0
	v_add3_u32 v50, 0, v50, v159
	v_add_nc_u32_e32 v51, 0x1800, v50
	ds_write2_b64 v51, v[52:53], v[54:55] offset0:12 offset1:77
	ds_write_b64 v50, v[48:49] offset:7280
.LBB0_24:
	s_or_b32 exec_lo, exec_lo, s1
	s_waitcnt lgkmcnt(0)
	s_barrier
	buffer_gl0_inv
	s_and_saveexec_b32 s0, vcc_lo
	s_cbranch_execz .LBB0_26
; %bb.25:
	v_lshlrev_b32_e32 v82, 2, v155
	v_mov_b32_e32 v83, 0
	v_add_nc_u32_e32 v159, 0xc00, v158
	v_add_nc_u32_e32 v169, 0x1400, v158
	;; [unrolled: 1-line block ×4, first 2 shown]
	v_lshlrev_b64 v[48:49], 4, v[82:83]
	v_lshlrev_b32_e32 v82, 2, v154
	v_add_nc_u32_e32 v191, 0x1000, v158
	v_mad_u64_u32 v[150:151], null, s2, v152, 0
	s_mov_b32 s11, 0x3fee6f0e
	v_add_co_u32 v50, vcc_lo, s8, v48
	v_add_co_ci_u32_e32 v51, vcc_lo, s9, v49, vcc_lo
	v_lshlrev_b64 v[48:49], 4, v[82:83]
	v_add_co_u32 v56, vcc_lo, 0xb60, v50
	v_add_co_ci_u32_e32 v57, vcc_lo, 0, v51, vcc_lo
	v_add_co_u32 v50, vcc_lo, 0x800, v50
	v_add_co_ci_u32_e32 v51, vcc_lo, 0, v51, vcc_lo
	v_add_co_u32 v60, vcc_lo, s8, v48
	v_lshlrev_b32_e32 v82, 2, v156
	v_add_co_ci_u32_e32 v61, vcc_lo, s9, v49, vcc_lo
	v_add_co_u32 v58, vcc_lo, 0x800, v60
	v_lshlrev_b64 v[84:85], 4, v[82:83]
	v_add_co_ci_u32_e32 v59, vcc_lo, 0, v61, vcc_lo
	v_add_co_u32 v64, vcc_lo, 0xb60, v60
	v_add_co_ci_u32_e32 v65, vcc_lo, 0, v61, vcc_lo
	v_add_co_u32 v86, vcc_lo, s8, v84
	v_lshlrev_b32_e32 v82, 2, v153
	v_add_co_ci_u32_e32 v87, vcc_lo, s9, v85, vcc_lo
	v_add_co_u32 v96, vcc_lo, 0xb60, v86
	v_lshlrev_b64 v[84:85], 4, v[82:83]
	v_add_co_ci_u32_e32 v97, vcc_lo, 0, v87, vcc_lo
	v_add_co_u32 v92, vcc_lo, 0x800, v86
	v_add_co_ci_u32_e32 v93, vcc_lo, 0, v87, vcc_lo
	v_add_co_u32 v94, vcc_lo, s8, v84
	v_lshlrev_b32_e32 v82, 2, v152
	v_add_co_ci_u32_e32 v95, vcc_lo, s9, v85, vcc_lo
	s_clause 0x7
	global_load_dwordx4 v[52:55], v[50:51], off offset:864
	global_load_dwordx4 v[48:51], v[56:57], off offset:48
	global_load_dwordx4 v[72:75], v[56:57], off offset:32
	global_load_dwordx4 v[76:79], v[56:57], off offset:16
	global_load_dwordx4 v[68:71], v[58:59], off offset:864
	global_load_dwordx4 v[60:63], v[64:65], off offset:48
	global_load_dwordx4 v[56:59], v[64:65], off offset:32
	global_load_dwordx4 v[64:67], v[64:65], off offset:16
	v_add_co_u32 v114, vcc_lo, 0xb60, v94
	v_lshlrev_b64 v[82:83], 4, v[82:83]
	v_add_co_ci_u32_e32 v115, vcc_lo, 0, v95, vcc_lo
	v_add_co_u32 v100, vcc_lo, 0x800, v94
	v_add_co_ci_u32_e32 v101, vcc_lo, 0, v95, vcc_lo
	v_add_co_u32 v118, vcc_lo, s8, v82
	s_clause 0x3
	global_load_dwordx4 v[84:87], v[96:97], off offset:32
	global_load_dwordx4 v[88:91], v[96:97], off offset:16
	;; [unrolled: 1-line block ×4, first 2 shown]
	v_add_co_ci_u32_e32 v119, vcc_lo, s9, v83, vcc_lo
	v_add_co_u32 v82, vcc_lo, 0xb60, v118
	s_clause 0x2
	global_load_dwordx4 v[100:103], v[100:101], off offset:864
	global_load_dwordx4 v[106:109], v[114:115], off offset:32
	;; [unrolled: 1-line block ×3, first 2 shown]
	v_add_co_ci_u32_e32 v83, vcc_lo, 0, v119, vcc_lo
	v_add_co_u32 v122, vcc_lo, 0x800, v118
	v_add_co_ci_u32_e32 v123, vcc_lo, 0, v119, vcc_lo
	s_clause 0x4
	global_load_dwordx4 v[114:117], v[114:115], off offset:48
	global_load_dwordx4 v[118:121], v[82:83], off offset:16
	;; [unrolled: 1-line block ×5, first 2 shown]
	ds_read2_b64 v[138:141], v158 offset0:117 offset1:156
	ds_read2_b64 v[142:145], v158 offset0:39 offset1:78
	;; [unrolled: 1-line block ×3, first 2 shown]
	ds_read_b64 v[122:123], v157
	ds_read2_b64 v[157:160], v159 offset0:123 offset1:162
	ds_read2_b64 v[161:164], v181 offset0:95 offset1:134
	;; [unrolled: 1-line block ×8, first 2 shown]
	v_mad_u64_u32 v[189:190], null, s3, v152, v[151:152]
	s_mov_b32 s8, 0x134454ff
	s_mov_b32 s9, 0xbfee6f0e
	s_mov_b32 s10, s8
	s_mov_b32 s4, 0x4755a5e
	s_mov_b32 s5, 0x3fe2cf23
	s_mov_b32 s7, 0xbfe2cf23
	v_mov_b32_e32 v151, v189
	ds_read2_b64 v[189:192], v191 offset0:73 offset1:112
	s_mov_b32 s6, s4
	v_add_nc_u32_e32 v249, 0x186, v152
	v_add_co_u32 v82, vcc_lo, s12, v104
	v_add_co_ci_u32_e32 v83, vcc_lo, s13, v105, vcc_lo
	v_mad_u64_u32 v[104:105], null, s2, v125, 0
	v_mad_u64_u32 v[193:194], null, s2, v249, 0
	s_mov_b32 s0, 0x372fe950
	s_mov_b32 s1, 0x3fd3c6ef
	v_lshlrev_b64 v[150:151], 4, v[150:151]
	s_waitcnt vmcnt(19)
	v_mul_f64 v[197:198], v[8:9], v[54:55]
	s_waitcnt vmcnt(17)
	v_mul_f64 v[199:200], v[20:21], v[74:75]
	;; [unrolled: 2-line block ×3, first 2 shown]
	v_mul_f64 v[201:202], v[46:47], v[50:51]
	s_waitcnt lgkmcnt(7)
	v_mul_f64 v[54:55], v[161:162], v[54:55]
	s_waitcnt lgkmcnt(6)
	v_mul_f64 v[50:51], v[167:168], v[50:51]
	v_mul_f64 v[78:79], v[159:160], v[78:79]
	s_waitcnt lgkmcnt(5)
	v_mul_f64 v[74:75], v[169:170], v[74:75]
	s_waitcnt vmcnt(12)
	v_mul_f64 v[203:204], v[40:41], v[66:67]
	v_mul_f64 v[205:206], v[38:39], v[70:71]
	;; [unrolled: 1-line block ×4, first 2 shown]
	s_waitcnt lgkmcnt(4)
	v_mul_f64 v[70:71], v[175:176], v[70:71]
	v_mul_f64 v[62:63], v[165:166], v[62:63]
	;; [unrolled: 1-line block ×3, first 2 shown]
	s_waitcnt lgkmcnt(3)
	v_mul_f64 v[58:59], v[179:180], v[58:59]
	s_waitcnt vmcnt(9)
	v_mul_f64 v[213:214], v[36:37], v[94:95]
	s_waitcnt vmcnt(8)
	v_mul_f64 v[217:218], v[30:31], v[98:99]
	v_mul_f64 v[211:212], v[26:27], v[90:91]
	v_mul_f64 v[94:95], v[173:174], v[94:95]
	s_waitcnt lgkmcnt(1)
	v_mul_f64 v[98:99], v[187:188], v[98:99]
	v_mul_f64 v[90:91], v[183:184], v[90:91]
	s_waitcnt vmcnt(5)
	v_mul_f64 v[219:220], v[24:25], v[112:113]
	v_mul_f64 v[221:222], v[18:19], v[102:103]
	;; [unrolled: 1-line block ×3, first 2 shown]
	v_fma_f64 v[161:162], v[161:162], v[52:53], v[197:198]
	v_fma_f64 v[8:9], v[8:9], v[52:53], -v[54:55]
	v_mul_f64 v[54:55], v[148:149], v[102:103]
	s_waitcnt vmcnt(4)
	v_mul_f64 v[52:53], v[28:29], v[116:117]
	v_fma_f64 v[102:103], v[167:168], v[48:49], v[201:202]
	v_fma_f64 v[46:47], v[46:47], v[48:49], -v[50:51]
	v_mul_f64 v[48:49], v[185:186], v[116:117]
	v_mul_f64 v[50:51], v[181:182], v[112:113]
	v_fma_f64 v[112:113], v[159:160], v[76:77], v[195:196]
	v_fma_f64 v[42:43], v[42:43], v[76:77], -v[78:79]
	s_waitcnt lgkmcnt(0)
	v_mul_f64 v[76:77], v[191:192], v[108:109]
	s_waitcnt vmcnt(3)
	v_mul_f64 v[78:79], v[10:11], v[120:121]
	v_fma_f64 v[108:109], v[169:170], v[72:73], v[199:200]
	v_fma_f64 v[20:21], v[20:21], v[72:73], -v[74:75]
	s_waitcnt vmcnt(2)
	v_mul_f64 v[72:73], v[16:17], v[128:129]
	v_fma_f64 v[116:117], v[157:158], v[64:65], v[203:204]
	s_waitcnt vmcnt(0)
	v_mul_f64 v[157:158], v[22:23], v[136:137]
	v_mul_f64 v[128:129], v[146:147], v[128:129]
	v_fma_f64 v[159:160], v[165:166], v[60:61], v[209:210]
	v_mul_f64 v[136:137], v[171:172], v[136:137]
	v_mul_f64 v[120:121], v[163:164], v[120:121]
	v_fma_f64 v[165:166], v[175:176], v[68:69], v[205:206]
	v_fma_f64 v[38:39], v[38:39], v[68:69], -v[70:71]
	v_fma_f64 v[70:71], v[179:180], v[56:57], v[207:208]
	v_mul_f64 v[215:216], v[32:33], v[86:87]
	v_mul_f64 v[86:87], v[177:178], v[86:87]
	;; [unrolled: 1-line block ×4, first 2 shown]
	v_fma_f64 v[44:45], v[44:45], v[60:61], -v[62:63]
	v_fma_f64 v[40:41], v[40:41], v[64:65], -v[66:67]
	;; [unrolled: 1-line block ×3, first 2 shown]
	v_fma_f64 v[58:59], v[173:174], v[92:93], v[213:214]
	v_fma_f64 v[62:63], v[187:188], v[96:97], v[217:218]
	v_fma_f64 v[36:37], v[36:37], v[92:93], -v[94:95]
	v_fma_f64 v[64:65], v[30:31], v[96:97], -v[98:99]
	;; [unrolled: 1-line block ×3, first 2 shown]
	v_fma_f64 v[66:67], v[148:149], v[100:101], v[221:222]
	v_fma_f64 v[52:53], v[185:186], v[114:115], v[52:53]
	v_fma_f64 v[48:49], v[28:29], v[114:115], -v[48:49]
	v_fma_f64 v[24:25], v[24:25], v[110:111], -v[50:51]
	v_fma_f64 v[28:29], v[163:164], v[118:119], v[78:79]
	v_fma_f64 v[50:51], v[146:147], v[126:127], v[72:73]
	;; [unrolled: 1-line block ×3, first 2 shown]
	v_fma_f64 v[16:17], v[16:17], v[126:127], -v[128:129]
	v_fma_f64 v[22:23], v[22:23], v[134:135], -v[136:137]
	;; [unrolled: 1-line block ×3, first 2 shown]
	v_add_f64 v[96:97], v[42:43], -v[8:9]
	v_add_f64 v[98:99], v[20:21], -v[46:47]
	;; [unrolled: 1-line block ×6, first 2 shown]
	v_add_f64 v[157:158], v[165:166], v[138:139]
	v_fma_f64 v[56:57], v[183:184], v[88:89], v[211:212]
	v_fma_f64 v[60:61], v[177:178], v[84:85], v[215:216]
	v_fma_f64 v[30:31], v[32:33], v[84:85], -v[86:87]
	v_fma_f64 v[18:19], v[18:19], v[100:101], -v[54:55]
	;; [unrolled: 1-line block ×3, first 2 shown]
	v_fma_f64 v[54:55], v[189:190], v[130:131], v[74:75]
	v_fma_f64 v[12:13], v[12:13], v[130:131], -v[68:69]
	v_add_f64 v[68:69], v[112:113], -v[161:162]
	v_add_f64 v[74:75], v[108:109], -v[102:103]
	;; [unrolled: 1-line block ×3, first 2 shown]
	v_add_f64 v[78:79], v[161:162], v[102:103]
	v_add_f64 v[88:89], v[161:162], -v[112:113]
	v_add_f64 v[90:91], v[102:103], -v[108:109]
	v_add_f64 v[92:93], v[112:113], v[108:109]
	v_add_f64 v[94:95], v[161:162], v[140:141]
	;; [unrolled: 1-line block ×9, first 2 shown]
	v_fma_f64 v[32:33], v[181:182], v[110:111], v[219:220]
	v_add_f64 v[110:111], v[161:162], -v[102:103]
	v_add_f64 v[130:131], v[38:39], -v[44:45]
	;; [unrolled: 1-line block ×4, first 2 shown]
	v_add_f64 v[38:39], v[4:5], v[38:39]
	v_add_f64 v[183:184], v[58:59], v[62:63]
	v_add_f64 v[173:174], v[44:45], -v[34:35]
	v_add_f64 v[126:127], v[116:117], -v[165:166]
	;; [unrolled: 1-line block ×6, first 2 shown]
	v_add_f64 v[203:204], v[36:37], v[64:65]
	v_add_f64 v[205:206], v[36:37], -v[26:27]
	v_add_f64 v[36:37], v[2:3], v[36:37]
	v_add_f64 v[217:218], v[66:67], v[52:53]
	v_add_f64 v[247:248], v[16:17], -v[22:23]
	v_add_f64 v[96:97], v[96:97], v[98:99]
	v_add_f64 v[98:99], v[50:51], v[122:123]
	v_add_f64 v[114:115], v[114:115], v[118:119]
	v_add_f64 v[118:119], v[10:11], -v[16:17]
	v_add_f64 v[136:137], v[136:137], v[146:147]
	;; [unrolled: 4-line block ×3, first 2 shown]
	v_fma_f64 v[84:85], v[191:192], v[106:107], v[223:224]
	v_add_f64 v[86:87], v[42:43], -v[20:21]
	v_add_f64 v[106:107], v[112:113], -v[108:109]
	;; [unrolled: 1-line block ×5, first 2 shown]
	v_add_f64 v[195:196], v[58:59], v[144:145]
	v_add_f64 v[209:210], v[26:27], v[30:31]
	v_add_f64 v[215:216], v[18:19], -v[48:49]
	v_add_f64 v[229:230], v[24:25], -v[18:19]
	v_add_f64 v[235:236], v[18:19], v[48:49]
	v_add_f64 v[237:238], v[18:19], -v[24:25]
	v_add_f64 v[18:19], v[0:1], v[18:19]
	v_fma_f64 v[78:79], v[78:79], -0.5, v[140:141]
	v_fma_f64 v[92:93], v[92:93], -0.5, v[140:141]
	v_add_f64 v[140:141], v[50:51], v[72:73]
	v_add_f64 v[68:69], v[68:69], v[74:75]
	v_add_f64 v[74:75], v[50:51], -v[28:29]
	v_add_f64 v[88:89], v[88:89], v[90:91]
	v_add_f64 v[90:91], v[72:73], -v[54:55]
	v_add_f64 v[94:95], v[112:113], v[94:95]
	v_add_f64 v[112:113], v[28:29], v[54:55]
	v_add_f64 v[8:9], v[42:43], v[8:9]
	v_add_f64 v[42:43], v[12:13], -v[22:23]
	v_add_f64 v[134:135], v[40:41], -v[34:35]
	;; [unrolled: 1-line block ×3, first 2 shown]
	v_fma_f64 v[132:133], v[132:133], -0.5, v[138:139]
	v_fma_f64 v[138:139], v[148:149], -0.5, v[138:139]
	;; [unrolled: 1-line block ×6, first 2 shown]
	v_add_f64 v[185:186], v[26:27], -v[30:31]
	v_add_f64 v[38:39], v[40:41], v[38:39]
	v_fma_f64 v[40:41], v[183:184], -0.5, v[144:145]
	v_add_f64 v[171:172], v[171:172], v[173:174]
	v_add_f64 v[173:174], v[10:11], v[12:13]
	;; [unrolled: 1-line block ×3, first 2 shown]
	v_add_f64 v[207:208], v[64:65], -v[30:31]
	v_add_f64 v[219:220], v[24:25], -v[14:15]
	;; [unrolled: 1-line block ×4, first 2 shown]
	v_add_f64 v[126:127], v[126:127], v[128:129]
	v_add_f64 v[128:129], v[28:29], -v[54:55]
	v_add_f64 v[26:27], v[26:27], v[36:37]
	v_fma_f64 v[36:37], v[217:218], -0.5, v[142:143]
	v_add_f64 v[28:29], v[28:29], v[98:99]
	v_add_f64 v[10:11], v[10:11], v[16:17]
	v_add_f64 v[187:188], v[58:59], -v[56:57]
	v_add_f64 v[189:190], v[62:63], -v[60:61]
	v_add_f64 v[191:192], v[56:57], v[60:61]
	v_add_f64 v[201:202], v[56:57], -v[60:61]
	v_add_f64 v[58:59], v[58:59], -v[62:63]
	;; [unrolled: 1-line block ×4, first 2 shown]
	v_add_f64 v[241:242], v[24:25], v[14:15]
	v_add_f64 v[161:162], v[161:162], v[163:164]
	v_add_f64 v[163:164], v[22:23], -v[12:13]
	v_add_f64 v[169:170], v[177:178], v[179:180]
	v_add_f64 v[56:57], v[56:57], v[195:196]
	v_fma_f64 v[179:180], v[203:204], -0.5, v[2:3]
	v_fma_f64 v[2:3], v[209:210], -0.5, v[2:3]
	v_add_f64 v[18:19], v[24:25], v[18:19]
	v_fma_f64 v[24:25], v[140:141], -0.5, v[122:123]
	v_add_f64 v[140:141], v[74:75], v[90:91]
	;; [unrolled: 2-line block ×3, first 2 shown]
	v_fma_f64 v[42:43], v[146:147], -0.5, v[80:81]
	v_fma_f64 v[16:17], v[86:87], s[8:9], v[78:79]
	v_fma_f64 v[78:79], v[86:87], s[10:11], v[78:79]
	;; [unrolled: 1-line block ×4, first 2 shown]
	v_add_f64 v[94:95], v[108:109], v[94:95]
	v_fma_f64 v[98:99], v[106:107], s[10:11], v[100:101]
	v_fma_f64 v[100:101], v[106:107], s[8:9], v[100:101]
	v_fma_f64 v[108:109], v[110:111], s[8:9], v[6:7]
	v_fma_f64 v[6:7], v[110:111], s[10:11], v[6:7]
	v_add_f64 v[8:9], v[8:9], v[20:21]
	v_fma_f64 v[20:21], v[134:135], s[8:9], v[132:133]
	v_fma_f64 v[122:123], v[134:135], s[10:11], v[132:133]
	;; [unrolled: 1-line block ×5, first 2 shown]
	v_add_f64 v[34:35], v[38:39], v[34:35]
	v_fma_f64 v[38:39], v[185:186], s[8:9], v[40:41]
	v_add_f64 v[50:51], v[50:51], -v[72:73]
	v_fma_f64 v[80:81], v[173:174], -0.5, v[80:81]
	v_add_f64 v[211:212], v[32:33], -v[66:67]
	v_add_f64 v[213:214], v[84:85], -v[52:53]
	v_add_f64 v[225:226], v[32:33], v[84:85]
	v_add_f64 v[233:234], v[32:33], -v[84:85]
	v_add_f64 v[32:33], v[32:33], v[227:228]
	v_fma_f64 v[4:5], v[165:166], s[10:11], v[4:5]
	v_add_f64 v[245:246], v[54:55], -v[72:73]
	v_add_f64 v[183:184], v[205:206], v[207:208]
	v_fma_f64 v[205:206], v[219:220], s[8:9], v[36:37]
	v_fma_f64 v[36:37], v[219:220], s[10:11], v[36:37]
	v_add_f64 v[54:55], v[54:55], v[28:29]
	v_add_f64 v[10:11], v[10:11], v[12:13]
	v_add_f64 v[66:67], v[66:67], -v[52:53]
	v_add_f64 v[175:176], v[187:188], v[189:190]
	v_add_f64 v[189:190], v[221:222], v[223:224]
	v_fma_f64 v[195:196], v[235:236], -0.5, v[0:1]
	v_fma_f64 v[0:1], v[241:242], -0.5, v[0:1]
	v_add_f64 v[118:119], v[157:158], v[163:164]
	v_add_f64 v[56:57], v[60:61], v[56:57]
	v_fma_f64 v[60:61], v[201:202], s[10:11], v[179:180]
	v_fma_f64 v[163:164], v[201:202], s[8:9], v[179:180]
	;; [unrolled: 1-line block ×6, first 2 shown]
	v_add_f64 v[70:71], v[70:71], v[116:117]
	v_fma_f64 v[116:117], v[167:168], s[10:11], v[120:121]
	v_fma_f64 v[12:13], v[76:77], s[4:5], v[16:17]
	;; [unrolled: 1-line block ×5, first 2 shown]
	v_add_f64 v[2:3], v[102:103], v[94:95]
	v_fma_f64 v[86:87], v[110:111], s[6:7], v[98:99]
	v_fma_f64 v[90:91], v[110:111], s[4:5], v[100:101]
	;; [unrolled: 1-line block ×12, first 2 shown]
	v_add_f64 v[199:200], v[30:31], -v[64:65]
	v_add_f64 v[231:232], v[14:15], -v[48:49]
	;; [unrolled: 1-line block ×3, first 2 shown]
	v_add_f64 v[187:188], v[211:212], v[213:214]
	v_add_f64 v[14:15], v[18:19], v[14:15]
	v_fma_f64 v[18:19], v[148:149], s[8:9], v[24:25]
	v_fma_f64 v[213:214], v[148:149], s[10:11], v[24:25]
	;; [unrolled: 1-line block ×3, first 2 shown]
	v_add_f64 v[32:33], v[84:85], v[32:33]
	v_fma_f64 v[108:109], v[167:168], s[4:5], v[4:5]
	v_fma_f64 v[138:139], v[215:216], s[6:7], v[36:37]
	v_add_f64 v[38:39], v[72:73], v[54:55]
	v_add_f64 v[36:37], v[10:11], v[22:23]
	v_fma_f64 v[209:210], v[66:67], s[8:9], v[0:1]
	v_fma_f64 v[211:212], v[66:67], s[10:11], v[0:1]
	v_add_f64 v[0:1], v[8:9], v[46:47]
	v_fma_f64 v[46:47], v[130:131], s[6:7], v[122:123]
	v_fma_f64 v[98:99], v[134:135], s[4:5], v[132:133]
	;; [unrolled: 1-line block ×7, first 2 shown]
	v_add_f64 v[203:204], v[26:27], v[30:31]
	v_add_f64 v[26:27], v[159:160], v[70:71]
	v_fma_f64 v[70:71], v[165:166], s[6:7], v[116:117]
	v_fma_f64 v[10:11], v[68:69], s[0:1], v[12:13]
	;; [unrolled: 1-line block ×5, first 2 shown]
	v_mov_b32_e32 v96, v194
	v_mad_u64_u32 v[100:101], null, s3, v125, v[105:106]
	v_fma_f64 v[54:55], v[169:170], s[0:1], v[110:111]
	v_add_nc_u32_e32 v111, 0x249, v152
	v_fma_f64 v[102:103], v[165:166], s[4:5], v[120:121]
	v_fma_f64 v[167:168], v[148:149], s[4:5], v[217:218]
	;; [unrolled: 1-line block ×4, first 2 shown]
	v_add_f64 v[177:178], v[197:198], v[199:200]
	v_add_f64 v[199:200], v[243:244], v[245:246]
	;; [unrolled: 1-line block ×3, first 2 shown]
	v_fma_f64 v[56:57], v[58:59], s[6:7], v[60:61]
	v_fma_f64 v[60:61], v[58:59], s[4:5], v[163:164]
	;; [unrolled: 1-line block ×6, first 2 shown]
	v_mad_u64_u32 v[106:107], null, s3, v249, v[96:97]
	v_add_f64 v[24:25], v[34:35], v[44:45]
	v_add_f64 v[34:35], v[52:53], v[32:33]
	;; [unrolled: 1-line block ×3, first 2 shown]
	v_fma_f64 v[48:49], v[171:172], s[0:1], v[108:109]
	v_mad_u64_u32 v[107:108], null, s2, v111, 0
	v_add_co_u32 v109, vcc_lo, v82, v150
	v_add_co_ci_u32_e32 v110, vcc_lo, v83, v151, vcc_lo
	v_mov_b32_e32 v105, v100
	v_fma_f64 v[144:145], v[191:192], -0.5, v[144:145]
	v_fma_f64 v[6:7], v[88:89], s[0:1], v[76:77]
	global_store_dwordx4 v[109:110], v[36:39], off
	v_mov_b32_e32 v36, v108
	v_lshlrev_b64 v[37:38], 4, v[104:105]
	v_fma_f64 v[18:19], v[88:89], s[0:1], v[78:79]
	v_fma_f64 v[4:5], v[114:115], s[0:1], v[92:93]
	;; [unrolled: 1-line block ×4, first 2 shown]
	v_add_nc_u32_e32 v112, 0x30c, v152
	v_fma_f64 v[116:117], v[181:182], s[6:7], v[40:41]
	v_fma_f64 v[40:41], v[161:162], s[0:1], v[70:71]
	v_fma_f64 v[142:143], v[225:226], -0.5, v[142:143]
	v_mad_u64_u32 v[104:105], null, s3, v111, v[36:37]
	v_mov_b32_e32 v194, v106
	v_mad_u64_u32 v[105:106], null, s2, v112, 0
	v_mad_u64_u32 v[109:110], null, s2, v153, 0
	v_fma_f64 v[44:45], v[161:162], s[0:1], v[102:103]
	v_fma_f64 v[102:103], v[140:141], s[0:1], v[148:149]
	;; [unrolled: 1-line block ×7, first 2 shown]
	v_add_co_u32 v36, vcc_lo, v82, v37
	v_add_co_ci_u32_e32 v37, vcc_lo, v83, v38, vcc_lo
	v_mov_b32_e32 v38, v106
	v_mov_b32_e32 v39, v110
	;; [unrolled: 1-line block ×3, first 2 shown]
	v_lshlrev_b64 v[80:81], 4, v[193:194]
	v_fma_f64 v[157:158], v[181:182], s[10:11], v[144:145]
	v_fma_f64 v[144:145], v[181:182], s[8:9], v[144:145]
	v_mad_u64_u32 v[110:111], null, s3, v112, v[38:39]
	v_fma_f64 v[181:182], v[128:129], s[6:7], v[223:224]
	v_lshlrev_b64 v[106:107], 4, v[107:108]
	v_add_co_u32 v80, vcc_lo, v82, v80
	v_mad_u64_u32 v[38:39], null, s3, v153, v[39:40]
	v_mad_u64_u32 v[111:112], null, s2, v124, 0
	v_add_co_ci_u32_e32 v81, vcc_lo, v83, v81, vcc_lo
	v_fma_f64 v[207:208], v[215:216], s[10:11], v[142:143]
	v_fma_f64 v[142:143], v[215:216], s[8:9], v[142:143]
	;; [unrolled: 1-line block ×3, first 2 shown]
	v_add_co_u32 v113, vcc_lo, v82, v106
	v_mov_b32_e32 v106, v110
	v_add_co_ci_u32_e32 v114, vcc_lo, v83, v107, vcc_lo
	v_fma_f64 v[195:196], v[233:234], s[8:9], v[195:196]
	global_store_dwordx4 v[36:37], v[100:103], off
	v_mov_b32_e32 v110, v38
	v_lshlrev_b64 v[37:38], 4, v[105:106]
	v_mov_b32_e32 v36, v112
	global_store_dwordx4 v[80:81], v[92:95], off
	global_store_dwordx4 v[113:114], v[88:91], off
	v_add_nc_u32_e32 v91, 0x1ad, v152
	v_lshlrev_b64 v[80:81], 4, v[109:110]
	v_mad_u64_u32 v[88:89], null, s3, v124, v[36:37]
	v_fma_f64 v[22:23], v[136:137], s[0:1], v[98:99]
	v_mad_u64_u32 v[89:90], null, s2, v91, 0
	v_fma_f64 v[98:99], v[140:141], s[0:1], v[167:168]
	v_fma_f64 v[96:97], v[118:119], s[0:1], v[181:182]
	v_add_co_u32 v36, vcc_lo, v82, v37
	v_add_co_ci_u32_e32 v37, vcc_lo, v83, v38, vcc_lo
	v_add_co_u32 v38, vcc_lo, v82, v80
	v_mov_b32_e32 v80, v90
	v_add_f64 v[191:192], v[229:230], v[231:232]
	v_add_f64 v[197:198], v[237:238], v[239:240]
	v_fma_f64 v[142:143], v[219:220], s[6:7], v[142:143]
	v_fma_f64 v[84:85], v[66:67], s[6:7], v[84:85]
	;; [unrolled: 1-line block ×4, first 2 shown]
	v_add_co_ci_u32_e32 v39, vcc_lo, v83, v81, vcc_lo
	v_mad_u64_u32 v[80:81], null, s3, v91, v[80:81]
	v_mul_hi_u32 v95, 0x50150151, v156
	v_mov_b32_e32 v112, v88
	v_add_nc_u32_e32 v88, 0x270, v152
	v_add_nc_u32_e32 v81, 0x333, v152
	v_fma_f64 v[134:135], v[215:216], s[4:5], v[205:206]
	v_fma_f64 v[120:121], v[185:186], s[4:5], v[157:158]
	v_mov_b32_e32 v90, v80
	v_mad_u64_u32 v[91:92], null, s2, v88, 0
	v_sub_nc_u32_e32 v100, v156, v95
	v_fma_f64 v[122:123], v[185:186], s[6:7], v[144:145]
	v_fma_f64 v[144:145], v[219:220], s[4:5], v[207:208]
	;; [unrolled: 1-line block ×3, first 2 shown]
	global_store_dwordx4 v[36:37], v[96:99], off
	global_store_dwordx4 v[38:39], v[32:35], off
	v_lshlrev_b64 v[35:36], 4, v[89:90]
	v_mad_u64_u32 v[93:94], null, s2, v81, 0
	v_lshrrev_b32_e32 v38, 1, v100
	v_mov_b32_e32 v34, v92
	v_fma_f64 v[86:87], v[189:190], s[0:1], v[142:143]
	v_fma_f64 v[68:69], v[191:192], s[0:1], v[84:85]
	;; [unrolled: 1-line block ×3, first 2 shown]
	v_add_nc_u32_e32 v89, v38, v95
	v_mad_u64_u32 v[38:39], null, s3, v88, v[34:35]
	v_fma_f64 v[74:75], v[187:188], s[0:1], v[138:139]
	v_fma_f64 v[72:73], v[191:192], s[0:1], v[146:147]
	v_mov_b32_e32 v37, v94
	v_lshrrev_b32_e32 v34, 7, v89
	v_lshlrev_b64 v[32:33], 4, v[111:112]
	v_fma_f64 v[70:71], v[187:188], s[0:1], v[134:135]
	v_mov_b32_e32 v92, v38
	v_mad_u64_u32 v[80:81], null, s3, v81, v[37:38]
	v_mad_u32_u24 v81, 0x30c, v34, v156
	v_add_co_u32 v32, vcc_lo, v82, v32
	v_fma_f64 v[78:79], v[189:190], s[0:1], v[144:145]
	v_fma_f64 v[76:77], v[197:198], s[0:1], v[157:158]
	v_add_co_ci_u32_e32 v33, vcc_lo, v83, v33, vcc_lo
	v_mov_b32_e32 v94, v80
	v_add_nc_u32_e32 v80, 0xc3, v81
	v_add_co_u32 v34, vcc_lo, v82, v35
	v_add_co_ci_u32_e32 v35, vcc_lo, v83, v36, vcc_lo
	v_mad_u64_u32 v[36:37], null, s2, v81, 0
	v_mad_u64_u32 v[38:39], null, s2, v80, 0
	global_store_dwordx4 v[32:33], v[84:87], off
	v_lshlrev_b64 v[32:33], 4, v[91:92]
	global_store_dwordx4 v[34:35], v[72:75], off
	v_lshlrev_b64 v[34:35], 4, v[93:94]
	v_add_f64 v[28:29], v[203:204], v[64:65]
	v_fma_f64 v[66:67], v[175:176], s[0:1], v[122:123]
	v_mad_u64_u32 v[72:73], null, s3, v81, v[37:38]
	v_add_co_u32 v32, vcc_lo, v82, v32
	v_add_co_ci_u32_e32 v33, vcc_lo, v83, v33, vcc_lo
	v_add_co_u32 v34, vcc_lo, v82, v34
	v_mov_b32_e32 v37, v39
	v_add_co_ci_u32_e32 v35, vcc_lo, v83, v35, vcc_lo
	global_store_dwordx4 v[32:33], v[68:71], off
	global_store_dwordx4 v[34:35], v[76:79], off
	v_mad_u64_u32 v[73:74], null, s3, v80, v[37:38]
	v_mov_b32_e32 v37, v72
	v_add_nc_u32_e32 v68, 0x186, v81
	v_mul_hi_u32 v71, 0x50150151, v154
	v_add_nc_u32_e32 v72, 0x249, v81
	v_fma_f64 v[64:65], v[183:184], s[0:1], v[132:133]
	v_lshlrev_b64 v[32:33], 4, v[36:37]
	v_mad_u64_u32 v[34:35], null, s2, v68, 0
	v_mad_u64_u32 v[36:37], null, s2, v72, 0
	v_sub_nc_u32_e32 v69, v154, v71
	v_mov_b32_e32 v39, v73
	v_add_nc_u32_e32 v73, 0x30c, v81
	v_add_co_u32 v32, vcc_lo, v82, v32
	v_lshrrev_b32_e32 v74, 1, v69
	v_mad_u64_u32 v[68:69], null, s3, v68, v[35:36]
	v_lshlrev_b64 v[38:39], 4, v[38:39]
	v_mov_b32_e32 v35, v37
	v_add_nc_u32_e32 v74, v74, v71
	v_add_co_ci_u32_e32 v33, vcc_lo, v83, v33, vcc_lo
	v_mad_u64_u32 v[69:70], null, s2, v73, 0
	v_add_co_u32 v37, vcc_lo, v82, v38
	v_mad_u64_u32 v[71:72], null, s3, v72, v[35:36]
	v_mov_b32_e32 v35, v68
	v_add_co_ci_u32_e32 v38, vcc_lo, v83, v39, vcc_lo
	v_lshrrev_b32_e32 v39, 7, v74
	global_store_dwordx4 v[32:33], v[28:31], off
	global_store_dwordx4 v[37:38], v[64:67], off
	v_lshlrev_b64 v[29:30], 4, v[34:35]
	v_mov_b32_e32 v28, v70
	v_mad_u32_u24 v64, 0x30c, v39, v154
	v_fma_f64 v[58:59], v[169:170], s[0:1], v[116:117]
	v_fma_f64 v[52:53], v[177:178], s[0:1], v[56:57]
	;; [unrolled: 1-line block ×3, first 2 shown]
	v_mad_u64_u32 v[31:32], null, s3, v73, v[28:29]
	v_mad_u64_u32 v[32:33], null, s2, v64, 0
	v_mov_b32_e32 v37, v71
	v_add_co_u32 v28, vcc_lo, v82, v29
	v_add_nc_u32_e32 v65, 0xc3, v64
	v_add_co_ci_u32_e32 v29, vcc_lo, v83, v30, vcc_lo
	v_lshlrev_b64 v[34:35], 4, v[36:37]
	v_mov_b32_e32 v30, v33
	v_mov_b32_e32 v70, v31
	v_mad_u64_u32 v[36:37], null, s2, v65, 0
	v_fma_f64 v[62:63], v[175:176], s[0:1], v[120:121]
	v_fma_f64 v[60:61], v[183:184], s[0:1], v[130:131]
	v_add_co_u32 v33, vcc_lo, v82, v34
	v_mad_u64_u32 v[30:31], null, s3, v64, v[30:31]
	v_add_co_ci_u32_e32 v34, vcc_lo, v83, v35, vcc_lo
	v_lshlrev_b64 v[38:39], 4, v[69:70]
	global_store_dwordx4 v[28:29], v[56:59], off
	global_store_dwordx4 v[33:34], v[52:55], off
	v_mov_b32_e32 v28, v37
	v_mov_b32_e32 v33, v30
	v_mul_hi_u32 v54, 0x50150151, v155
	v_add_co_u32 v34, vcc_lo, v82, v38
	v_add_nc_u32_e32 v38, 0x186, v64
	v_mad_u64_u32 v[28:29], null, s3, v65, v[28:29]
	v_lshlrev_b64 v[29:30], 4, v[32:33]
	v_add_co_ci_u32_e32 v35, vcc_lo, v83, v39, vcc_lo
	v_mad_u64_u32 v[31:32], null, s2, v38, 0
	v_add_nc_u32_e32 v39, 0x249, v64
	v_mov_b32_e32 v37, v28
	v_add_co_u32 v28, vcc_lo, v82, v29
	global_store_dwordx4 v[34:35], v[60:63], off
	v_mad_u64_u32 v[33:34], null, s2, v39, 0
	v_add_co_ci_u32_e32 v29, vcc_lo, v83, v30, vcc_lo
	v_mov_b32_e32 v30, v32
	v_lshlrev_b64 v[35:36], 4, v[36:37]
	v_add_nc_u32_e32 v55, 0x30c, v64
	global_store_dwordx4 v[28:29], v[24:27], off
	v_mov_b32_e32 v32, v34
	v_mad_u64_u32 v[37:38], null, s3, v38, v[30:31]
	v_sub_nc_u32_e32 v30, v155, v54
	v_mad_u64_u32 v[52:53], null, s2, v55, 0
	v_add_co_u32 v35, vcc_lo, v82, v35
	v_mad_u64_u32 v[38:39], null, s3, v39, v[32:33]
	v_add_co_ci_u32_e32 v36, vcc_lo, v83, v36, vcc_lo
	v_lshrrev_b32_e32 v25, 1, v30
	v_mov_b32_e32 v32, v37
	v_mov_b32_e32 v24, v53
	global_store_dwordx4 v[35:36], v[48:51], off
	v_fma_f64 v[46:47], v[126:127], s[0:1], v[46:47]
	v_add_nc_u32_e32 v35, v25, v54
	v_lshlrev_b64 v[25:26], 4, v[31:32]
	v_mov_b32_e32 v34, v38
	v_mad_u64_u32 v[29:30], null, s3, v55, v[24:25]
	v_lshrrev_b32_e32 v30, 7, v35
	v_lshlrev_b64 v[27:28], 4, v[33:34]
	v_add_co_u32 v24, vcc_lo, v82, v25
	v_add_co_ci_u32_e32 v25, vcc_lo, v83, v26, vcc_lo
	v_mad_u32_u24 v36, 0x30c, v30, v155
	v_add_co_u32 v26, vcc_lo, v82, v27
	v_add_co_ci_u32_e32 v27, vcc_lo, v83, v28, vcc_lo
	v_add_nc_u32_e32 v37, 0x186, v36
	v_mov_b32_e32 v53, v29
	v_mad_u64_u32 v[28:29], null, s2, v36, 0
	v_add_nc_u32_e32 v34, 0xc3, v36
	v_mad_u64_u32 v[30:31], null, s2, v37, 0
	global_store_dwordx4 v[24:25], v[44:47], off
	global_store_dwordx4 v[26:27], v[40:43], off
	v_mad_u64_u32 v[26:27], null, s2, v34, 0
	v_lshlrev_b64 v[24:25], 4, v[52:53]
	v_add_nc_u32_e32 v39, 0x249, v36
	v_mad_u64_u32 v[32:33], null, s3, v36, v[29:30]
	v_add_nc_u32_e32 v40, 0x30c, v36
	v_mad_u64_u32 v[33:34], null, s3, v34, v[27:28]
	v_mov_b32_e32 v27, v31
	v_add_co_u32 v24, vcc_lo, v82, v24
	v_mad_u64_u32 v[34:35], null, s2, v39, 0
	v_add_co_ci_u32_e32 v25, vcc_lo, v83, v25, vcc_lo
	v_mov_b32_e32 v29, v32
	v_mad_u64_u32 v[36:37], null, s3, v37, v[27:28]
	v_mad_u64_u32 v[37:38], null, s2, v40, 0
	global_store_dwordx4 v[24:25], v[20:23], off
	v_lshlrev_b64 v[21:22], 4, v[28:29]
	v_mov_b32_e32 v20, v35
	v_mov_b32_e32 v27, v33
	;; [unrolled: 1-line block ×3, first 2 shown]
	v_mad_u64_u32 v[23:24], null, s3, v39, v[20:21]
	v_mov_b32_e32 v20, v38
	v_add_co_u32 v21, vcc_lo, v82, v21
	v_lshlrev_b64 v[24:25], 4, v[26:27]
	v_add_co_ci_u32_e32 v22, vcc_lo, v83, v22, vcc_lo
	v_mad_u64_u32 v[26:27], null, s3, v40, v[20:21]
	v_lshlrev_b64 v[27:28], 4, v[30:31]
	v_mov_b32_e32 v35, v23
	v_add_co_u32 v23, vcc_lo, v82, v24
	v_add_co_ci_u32_e32 v24, vcc_lo, v83, v25, vcc_lo
	v_mov_b32_e32 v38, v26
	v_lshlrev_b64 v[29:30], 4, v[34:35]
	v_add_co_u32 v25, vcc_lo, v82, v27
	v_add_co_ci_u32_e32 v26, vcc_lo, v83, v28, vcc_lo
	v_lshlrev_b64 v[27:28], 4, v[37:38]
	v_add_co_u32 v29, vcc_lo, v82, v29
	v_add_co_ci_u32_e32 v30, vcc_lo, v83, v30, vcc_lo
	v_add_co_u32 v27, vcc_lo, v82, v27
	v_add_co_ci_u32_e32 v28, vcc_lo, v83, v28, vcc_lo
	global_store_dwordx4 v[21:22], v[0:3], off
	global_store_dwordx4 v[23:24], v[16:19], off
	;; [unrolled: 1-line block ×5, first 2 shown]
.LBB0_26:
	s_endpgm
	.section	.rodata,"a",@progbits
	.p2align	6, 0x0
	.amdhsa_kernel fft_rtc_fwd_len975_factors_13_5_3_5_wgs_117_tpt_39_halfLds_dp_ip_CI_sbrr_dirReg
		.amdhsa_group_segment_fixed_size 0
		.amdhsa_private_segment_fixed_size 0
		.amdhsa_kernarg_size 88
		.amdhsa_user_sgpr_count 6
		.amdhsa_user_sgpr_private_segment_buffer 1
		.amdhsa_user_sgpr_dispatch_ptr 0
		.amdhsa_user_sgpr_queue_ptr 0
		.amdhsa_user_sgpr_kernarg_segment_ptr 1
		.amdhsa_user_sgpr_dispatch_id 0
		.amdhsa_user_sgpr_flat_scratch_init 0
		.amdhsa_user_sgpr_private_segment_size 0
		.amdhsa_wavefront_size32 1
		.amdhsa_uses_dynamic_stack 0
		.amdhsa_system_sgpr_private_segment_wavefront_offset 0
		.amdhsa_system_sgpr_workgroup_id_x 1
		.amdhsa_system_sgpr_workgroup_id_y 0
		.amdhsa_system_sgpr_workgroup_id_z 0
		.amdhsa_system_sgpr_workgroup_info 0
		.amdhsa_system_vgpr_workitem_id 0
		.amdhsa_next_free_vgpr 253
		.amdhsa_next_free_sgpr 46
		.amdhsa_reserve_vcc 1
		.amdhsa_reserve_flat_scratch 0
		.amdhsa_float_round_mode_32 0
		.amdhsa_float_round_mode_16_64 0
		.amdhsa_float_denorm_mode_32 3
		.amdhsa_float_denorm_mode_16_64 3
		.amdhsa_dx10_clamp 1
		.amdhsa_ieee_mode 1
		.amdhsa_fp16_overflow 0
		.amdhsa_workgroup_processor_mode 1
		.amdhsa_memory_ordered 1
		.amdhsa_forward_progress 0
		.amdhsa_shared_vgpr_count 0
		.amdhsa_exception_fp_ieee_invalid_op 0
		.amdhsa_exception_fp_denorm_src 0
		.amdhsa_exception_fp_ieee_div_zero 0
		.amdhsa_exception_fp_ieee_overflow 0
		.amdhsa_exception_fp_ieee_underflow 0
		.amdhsa_exception_fp_ieee_inexact 0
		.amdhsa_exception_int_div_zero 0
	.end_amdhsa_kernel
	.text
.Lfunc_end0:
	.size	fft_rtc_fwd_len975_factors_13_5_3_5_wgs_117_tpt_39_halfLds_dp_ip_CI_sbrr_dirReg, .Lfunc_end0-fft_rtc_fwd_len975_factors_13_5_3_5_wgs_117_tpt_39_halfLds_dp_ip_CI_sbrr_dirReg
                                        ; -- End function
	.section	.AMDGPU.csdata,"",@progbits
; Kernel info:
; codeLenInByte = 23144
; NumSgprs: 48
; NumVgprs: 253
; ScratchSize: 0
; MemoryBound: 1
; FloatMode: 240
; IeeeMode: 1
; LDSByteSize: 0 bytes/workgroup (compile time only)
; SGPRBlocks: 5
; VGPRBlocks: 31
; NumSGPRsForWavesPerEU: 48
; NumVGPRsForWavesPerEU: 253
; Occupancy: 4
; WaveLimiterHint : 1
; COMPUTE_PGM_RSRC2:SCRATCH_EN: 0
; COMPUTE_PGM_RSRC2:USER_SGPR: 6
; COMPUTE_PGM_RSRC2:TRAP_HANDLER: 0
; COMPUTE_PGM_RSRC2:TGID_X_EN: 1
; COMPUTE_PGM_RSRC2:TGID_Y_EN: 0
; COMPUTE_PGM_RSRC2:TGID_Z_EN: 0
; COMPUTE_PGM_RSRC2:TIDIG_COMP_CNT: 0
	.text
	.p2alignl 6, 3214868480
	.fill 48, 4, 3214868480
	.type	__hip_cuid_1e004c86f1f641f,@object ; @__hip_cuid_1e004c86f1f641f
	.section	.bss,"aw",@nobits
	.globl	__hip_cuid_1e004c86f1f641f
__hip_cuid_1e004c86f1f641f:
	.byte	0                               ; 0x0
	.size	__hip_cuid_1e004c86f1f641f, 1

	.ident	"AMD clang version 19.0.0git (https://github.com/RadeonOpenCompute/llvm-project roc-6.4.0 25133 c7fe45cf4b819c5991fe208aaa96edf142730f1d)"
	.section	".note.GNU-stack","",@progbits
	.addrsig
	.addrsig_sym __hip_cuid_1e004c86f1f641f
	.amdgpu_metadata
---
amdhsa.kernels:
  - .args:
      - .actual_access:  read_only
        .address_space:  global
        .offset:         0
        .size:           8
        .value_kind:     global_buffer
      - .offset:         8
        .size:           8
        .value_kind:     by_value
      - .actual_access:  read_only
        .address_space:  global
        .offset:         16
        .size:           8
        .value_kind:     global_buffer
      - .actual_access:  read_only
        .address_space:  global
        .offset:         24
        .size:           8
        .value_kind:     global_buffer
      - .offset:         32
        .size:           8
        .value_kind:     by_value
      - .actual_access:  read_only
        .address_space:  global
        .offset:         40
        .size:           8
        .value_kind:     global_buffer
      - .actual_access:  read_only
        .address_space:  global
        .offset:         48
        .size:           8
        .value_kind:     global_buffer
      - .offset:         56
        .size:           4
        .value_kind:     by_value
      - .actual_access:  read_only
        .address_space:  global
        .offset:         64
        .size:           8
        .value_kind:     global_buffer
      - .actual_access:  read_only
        .address_space:  global
        .offset:         72
        .size:           8
        .value_kind:     global_buffer
      - .address_space:  global
        .offset:         80
        .size:           8
        .value_kind:     global_buffer
    .group_segment_fixed_size: 0
    .kernarg_segment_align: 8
    .kernarg_segment_size: 88
    .language:       OpenCL C
    .language_version:
      - 2
      - 0
    .max_flat_workgroup_size: 117
    .name:           fft_rtc_fwd_len975_factors_13_5_3_5_wgs_117_tpt_39_halfLds_dp_ip_CI_sbrr_dirReg
    .private_segment_fixed_size: 0
    .sgpr_count:     48
    .sgpr_spill_count: 0
    .symbol:         fft_rtc_fwd_len975_factors_13_5_3_5_wgs_117_tpt_39_halfLds_dp_ip_CI_sbrr_dirReg.kd
    .uniform_work_group_size: 1
    .uses_dynamic_stack: false
    .vgpr_count:     253
    .vgpr_spill_count: 0
    .wavefront_size: 32
    .workgroup_processor_mode: 1
amdhsa.target:   amdgcn-amd-amdhsa--gfx1030
amdhsa.version:
  - 1
  - 2
...

	.end_amdgpu_metadata
